;; amdgpu-corpus repo=ROCm/hipCUB kind=compiled arch=gfx1100 opt=O3
	.text
	.amdgcn_target "amdgcn-amd-amdhsa--gfx1100"
	.amdhsa_code_object_version 6
	.section	.text._Z9sort_keysILj256ELj7E12hip_bfloat16N10test_utils4lessEEvPT1_T2_,"axG",@progbits,_Z9sort_keysILj256ELj7E12hip_bfloat16N10test_utils4lessEEvPT1_T2_,comdat
	.protected	_Z9sort_keysILj256ELj7E12hip_bfloat16N10test_utils4lessEEvPT1_T2_ ; -- Begin function _Z9sort_keysILj256ELj7E12hip_bfloat16N10test_utils4lessEEvPT1_T2_
	.globl	_Z9sort_keysILj256ELj7E12hip_bfloat16N10test_utils4lessEEvPT1_T2_
	.p2align	8
	.type	_Z9sort_keysILj256ELj7E12hip_bfloat16N10test_utils4lessEEvPT1_T2_,@function
_Z9sort_keysILj256ELj7E12hip_bfloat16N10test_utils4lessEEvPT1_T2_: ; @_Z9sort_keysILj256ELj7E12hip_bfloat16N10test_utils4lessEEvPT1_T2_
; %bb.0:
	s_load_b64 s[0:1], s[0:1], 0x0
	v_mul_u32_u24_e32 v0, 7, v0
	s_mov_b32 s3, 0
	s_mul_i32 s2, s15, 0x700
	s_delay_alu instid0(SALU_CYCLE_1) | instskip(NEXT) | instid1(VALU_DEP_1)
	s_lshl_b64 s[2:3], s[2:3], 1
	v_lshlrev_b32_e32 v3, 1, v0
	s_waitcnt lgkmcnt(0)
	s_add_u32 s4, s0, s2
	s_addc_u32 s5, s1, s3
	s_clause 0x1
	global_load_b96 v[0:2], v3, s[4:5]
	global_load_u16 v4, v3, s[4:5] offset:12
	s_waitcnt vmcnt(1)
	v_and_b32_e32 v8, 0xffff0000, v1
	v_lshlrev_b32_e32 v9, 16, v1
	v_lshrrev_b32_e32 v10, 16, v1
	v_lshlrev_b32_e32 v12, 16, v2
	v_lshrrev_b32_e32 v13, 16, v2
	v_lshrrev_b32_e32 v7, 16, v0
	v_cmp_lt_f32_e32 vcc_lo, v8, v9
	v_lshlrev_b32_e32 v6, 16, v0
	s_waitcnt vmcnt(0)
	v_lshlrev_b32_e32 v14, 16, v4
	v_dual_cndmask_b32 v8, v10, v1 :: v_dual_cndmask_b32 v1, v1, v10
	v_and_b32_e32 v11, 0xffff0000, v2
	s_delay_alu instid0(VALU_DEP_2) | instskip(NEXT) | instid1(VALU_DEP_2)
	v_lshlrev_b32_e32 v10, 16, v8
	v_cmp_lt_f32_e64 s0, v11, v12
	s_delay_alu instid0(VALU_DEP_4) | instskip(NEXT) | instid1(VALU_DEP_2)
	v_lshlrev_b32_e32 v12, 16, v1
	v_cndmask_b32_e64 v9, v2, v13, s0
	v_and_b32_e32 v5, 0xffff0000, v0
	v_cndmask_b32_e64 v2, v13, v2, s0
	s_delay_alu instid0(VALU_DEP_2) | instskip(NEXT) | instid1(VALU_DEP_4)
	v_cmp_lt_f32_e64 s1, v5, v6
	v_lshlrev_b32_e32 v6, 16, v9
	s_delay_alu instid0(VALU_DEP_2) | instskip(SKIP_1) | instid1(VALU_DEP_3)
	v_cndmask_b32_e64 v5, v7, v0, s1
	v_cndmask_b32_e64 v0, v0, v7, s1
	v_cmp_lt_f32_e32 vcc_lo, v6, v10
	s_delay_alu instid0(VALU_DEP_3) | instskip(NEXT) | instid1(VALU_DEP_3)
	v_lshlrev_b32_e32 v7, 16, v5
	v_lshlrev_b32_e32 v10, 16, v0
	v_cndmask_b32_e32 v6, v8, v9, vcc_lo
	v_cndmask_b32_e32 v8, v9, v8, vcc_lo
	s_delay_alu instid0(VALU_DEP_4) | instskip(NEXT) | instid1(VALU_DEP_1)
	v_cmp_lt_f32_e64 s1, v12, v7
	v_cndmask_b32_e64 v7, v1, v5, s1
	v_lshlrev_b32_e32 v11, 16, v2
	v_cndmask_b32_e64 v1, v5, v1, s1
	s_delay_alu instid0(VALU_DEP_3) | instskip(NEXT) | instid1(VALU_DEP_3)
	v_lshlrev_b32_e32 v5, 16, v7
	v_cmp_lt_f32_e64 s0, v14, v11
	s_delay_alu instid0(VALU_DEP_3) | instskip(NEXT) | instid1(VALU_DEP_2)
	v_lshlrev_b32_e32 v13, 16, v1
	v_cndmask_b32_e64 v11, v4, v2, s0
	v_cndmask_b32_e64 v2, v2, v4, s0
	v_lshlrev_b32_e32 v4, 16, v6
	s_delay_alu instid0(VALU_DEP_4) | instskip(NEXT) | instid1(VALU_DEP_3)
	v_cmp_lt_f32_e64 s1, v13, v10
	v_lshlrev_b32_e32 v12, 16, v2
	s_delay_alu instid0(VALU_DEP_3) | instskip(NEXT) | instid1(VALU_DEP_3)
	v_cmp_lt_f32_e32 vcc_lo, v4, v5
	v_cndmask_b32_e64 v5, v1, v0, s1
	v_cndmask_b32_e64 v0, v0, v1, s1
	v_dual_cndmask_b32 v4, v7, v6 :: v_dual_lshlrev_b32 v9, 16, v8
	s_delay_alu instid0(VALU_DEP_3) | instskip(SKIP_2) | instid1(VALU_DEP_4)
	v_lshlrev_b32_e32 v10, 16, v5
	v_cndmask_b32_e32 v6, v6, v7, vcc_lo
	v_lshlrev_b32_e32 v7, 16, v11
	v_cmp_lt_f32_e64 s0, v12, v9
	s_delay_alu instid0(VALU_DEP_3) | instskip(NEXT) | instid1(VALU_DEP_2)
	v_lshlrev_b32_e32 v12, 16, v6
	v_cndmask_b32_e64 v9, v2, v8, s0
	v_cndmask_b32_e64 v2, v8, v2, s0
	v_lshlrev_b32_e32 v8, 16, v4
	s_delay_alu instid0(VALU_DEP_3) | instskip(NEXT) | instid1(VALU_DEP_2)
	v_lshlrev_b32_e32 v14, 16, v9
	v_cmp_lt_f32_e32 vcc_lo, v8, v10
	s_delay_alu instid0(VALU_DEP_2) | instskip(SKIP_2) | instid1(VALU_DEP_3)
	v_cmp_lt_f32_e64 s1, v7, v14
	v_dual_cndmask_b32 v1, v5, v4 :: v_dual_cndmask_b32 v4, v4, v5
	v_lshlrev_b32_e32 v5, 16, v0
	v_cndmask_b32_e64 v7, v9, v11, s1
	v_cndmask_b32_e64 v9, v11, v9, s1
	s_delay_alu instid0(VALU_DEP_4) | instskip(NEXT) | instid1(VALU_DEP_1)
	v_lshlrev_b32_e32 v14, 16, v1
	v_cmp_lt_f32_e64 s1, v14, v5
	s_delay_alu instid0(VALU_DEP_1) | instskip(SKIP_2) | instid1(VALU_DEP_1)
	v_cndmask_b32_e64 v5, v1, v0, s1
	v_cndmask_b32_e64 v0, v0, v1, s1
	v_lshlrev_b32_e32 v13, 16, v2
	v_cmp_lt_f32_e64 s0, v13, v12
	v_lshlrev_b32_e32 v12, 16, v4
	s_delay_alu instid0(VALU_DEP_2) | instskip(SKIP_2) | instid1(VALU_DEP_3)
	v_cndmask_b32_e64 v8, v6, v2, s0
	v_cndmask_b32_e64 v2, v2, v6, s0
	v_lshlrev_b32_e32 v6, 16, v7
	v_lshlrev_b32_e32 v10, 16, v8
	s_delay_alu instid0(VALU_DEP_3) | instskip(NEXT) | instid1(VALU_DEP_2)
	v_lshlrev_b32_e32 v13, 16, v2
	v_cmp_lt_f32_e32 vcc_lo, v10, v12
	s_delay_alu instid0(VALU_DEP_2) | instskip(SKIP_3) | instid1(VALU_DEP_4)
	v_cmp_lt_f32_e64 s0, v6, v13
	v_lshlrev_b32_e32 v10, 16, v5
	v_cndmask_b32_e32 v6, v8, v4, vcc_lo
	v_cndmask_b32_e32 v4, v4, v8, vcc_lo
	v_cndmask_b32_e64 v8, v7, v2, s0
	v_cndmask_b32_e64 v2, v2, v7, s0
	v_lshlrev_b32_e32 v7, 16, v9
	v_lshlrev_b32_e32 v12, 16, v6
	;; [unrolled: 1-line block ×5, first 2 shown]
	s_delay_alu instid0(VALU_DEP_3) | instskip(NEXT) | instid1(VALU_DEP_3)
	v_cmp_lt_f32_e32 vcc_lo, v11, v10
	v_cmp_lt_f32_e64 s1, v7, v14
	s_delay_alu instid0(VALU_DEP_3) | instskip(SKIP_1) | instid1(VALU_DEP_3)
	v_cmp_lt_f32_e64 s0, v13, v12
	v_cndmask_b32_e32 v1, v4, v5, vcc_lo
	v_cndmask_b32_e64 v7, v8, v9, s1
	v_cndmask_b32_e32 v4, v5, v4, vcc_lo
	s_delay_alu instid0(VALU_DEP_4)
	v_cndmask_b32_e64 v5, v2, v6, s0
	v_cndmask_b32_e64 v2, v6, v2, s0
	v_lshlrev_b32_e32 v6, 16, v0
	v_lshlrev_b32_e32 v10, 16, v1
	v_lshlrev_b32_e32 v11, 16, v4
	v_lshlrev_b32_e32 v12, 16, v7
	v_lshlrev_b32_e32 v13, 16, v2
	v_lshlrev_b32_e32 v14, 16, v5
	s_delay_alu instid0(VALU_DEP_4) | instskip(NEXT) | instid1(VALU_DEP_3)
	v_cmp_lt_f32_e32 vcc_lo, v11, v6
	v_cmp_lt_f32_e64 s0, v13, v10
	s_delay_alu instid0(VALU_DEP_3) | instskip(SKIP_2) | instid1(VALU_DEP_4)
	v_cmp_lt_f32_e64 s2, v12, v14
	v_cndmask_b32_e32 v6, v4, v0, vcc_lo
	v_cndmask_b32_e32 v0, v0, v4, vcc_lo
	v_cndmask_b32_e64 v4, v2, v1, s0
	s_delay_alu instid0(VALU_DEP_4) | instskip(SKIP_4) | instid1(VALU_DEP_4)
	v_cndmask_b32_e64 v10, v7, v5, s2
	v_cndmask_b32_e64 v1, v1, v2, s0
	;; [unrolled: 1-line block ×4, first 2 shown]
	v_perm_b32 v0, v6, v0, 0x5040100
	v_perm_b32 v1, v4, v1, 0x5040100
	s_delay_alu instid0(VALU_DEP_4)
	v_perm_b32 v2, v10, v2, 0x5040100
	s_clause 0x1
	global_store_b16 v3, v5, s[4:5] offset:12
	global_store_b96 v3, v[0:2], s[4:5]
	s_nop 0
	s_sendmsg sendmsg(MSG_DEALLOC_VGPRS)
	s_endpgm
	.section	.rodata,"a",@progbits
	.p2align	6, 0x0
	.amdhsa_kernel _Z9sort_keysILj256ELj7E12hip_bfloat16N10test_utils4lessEEvPT1_T2_
		.amdhsa_group_segment_fixed_size 0
		.amdhsa_private_segment_fixed_size 0
		.amdhsa_kernarg_size 12
		.amdhsa_user_sgpr_count 15
		.amdhsa_user_sgpr_dispatch_ptr 0
		.amdhsa_user_sgpr_queue_ptr 0
		.amdhsa_user_sgpr_kernarg_segment_ptr 1
		.amdhsa_user_sgpr_dispatch_id 0
		.amdhsa_user_sgpr_private_segment_size 0
		.amdhsa_wavefront_size32 1
		.amdhsa_uses_dynamic_stack 0
		.amdhsa_enable_private_segment 0
		.amdhsa_system_sgpr_workgroup_id_x 1
		.amdhsa_system_sgpr_workgroup_id_y 0
		.amdhsa_system_sgpr_workgroup_id_z 0
		.amdhsa_system_sgpr_workgroup_info 0
		.amdhsa_system_vgpr_workitem_id 0
		.amdhsa_next_free_vgpr 15
		.amdhsa_next_free_sgpr 16
		.amdhsa_reserve_vcc 1
		.amdhsa_float_round_mode_32 0
		.amdhsa_float_round_mode_16_64 0
		.amdhsa_float_denorm_mode_32 3
		.amdhsa_float_denorm_mode_16_64 3
		.amdhsa_dx10_clamp 1
		.amdhsa_ieee_mode 1
		.amdhsa_fp16_overflow 0
		.amdhsa_workgroup_processor_mode 1
		.amdhsa_memory_ordered 1
		.amdhsa_forward_progress 0
		.amdhsa_shared_vgpr_count 0
		.amdhsa_exception_fp_ieee_invalid_op 0
		.amdhsa_exception_fp_denorm_src 0
		.amdhsa_exception_fp_ieee_div_zero 0
		.amdhsa_exception_fp_ieee_overflow 0
		.amdhsa_exception_fp_ieee_underflow 0
		.amdhsa_exception_fp_ieee_inexact 0
		.amdhsa_exception_int_div_zero 0
	.end_amdhsa_kernel
	.section	.text._Z9sort_keysILj256ELj7E12hip_bfloat16N10test_utils4lessEEvPT1_T2_,"axG",@progbits,_Z9sort_keysILj256ELj7E12hip_bfloat16N10test_utils4lessEEvPT1_T2_,comdat
.Lfunc_end0:
	.size	_Z9sort_keysILj256ELj7E12hip_bfloat16N10test_utils4lessEEvPT1_T2_, .Lfunc_end0-_Z9sort_keysILj256ELj7E12hip_bfloat16N10test_utils4lessEEvPT1_T2_
                                        ; -- End function
	.section	.AMDGPU.csdata,"",@progbits
; Kernel info:
; codeLenInByte = 860
; NumSgprs: 18
; NumVgprs: 15
; ScratchSize: 0
; MemoryBound: 0
; FloatMode: 240
; IeeeMode: 1
; LDSByteSize: 0 bytes/workgroup (compile time only)
; SGPRBlocks: 2
; VGPRBlocks: 1
; NumSGPRsForWavesPerEU: 18
; NumVGPRsForWavesPerEU: 15
; Occupancy: 16
; WaveLimiterHint : 0
; COMPUTE_PGM_RSRC2:SCRATCH_EN: 0
; COMPUTE_PGM_RSRC2:USER_SGPR: 15
; COMPUTE_PGM_RSRC2:TRAP_HANDLER: 0
; COMPUTE_PGM_RSRC2:TGID_X_EN: 1
; COMPUTE_PGM_RSRC2:TGID_Y_EN: 0
; COMPUTE_PGM_RSRC2:TGID_Z_EN: 0
; COMPUTE_PGM_RSRC2:TIDIG_COMP_CNT: 0
	.section	.text._Z9sort_keysILj256ELj6E6__halfN10test_utils4lessEEvPT1_T2_,"axG",@progbits,_Z9sort_keysILj256ELj6E6__halfN10test_utils4lessEEvPT1_T2_,comdat
	.protected	_Z9sort_keysILj256ELj6E6__halfN10test_utils4lessEEvPT1_T2_ ; -- Begin function _Z9sort_keysILj256ELj6E6__halfN10test_utils4lessEEvPT1_T2_
	.globl	_Z9sort_keysILj256ELj6E6__halfN10test_utils4lessEEvPT1_T2_
	.p2align	8
	.type	_Z9sort_keysILj256ELj6E6__halfN10test_utils4lessEEvPT1_T2_,@function
_Z9sort_keysILj256ELj6E6__halfN10test_utils4lessEEvPT1_T2_: ; @_Z9sort_keysILj256ELj6E6__halfN10test_utils4lessEEvPT1_T2_
; %bb.0:
	s_load_b64 s[0:1], s[0:1], 0x0
	v_mul_u32_u24_e32 v0, 6, v0
	s_mov_b32 s3, 0
	s_mul_i32 s2, s15, 0x600
	s_delay_alu instid0(SALU_CYCLE_1) | instskip(NEXT) | instid1(VALU_DEP_1)
	s_lshl_b64 s[2:3], s[2:3], 1
	v_lshlrev_b32_e32 v8, 1, v0
	s_waitcnt lgkmcnt(0)
	s_add_u32 s2, s0, s2
	s_addc_u32 s3, s1, s3
	s_mov_b32 s0, exec_lo
	global_load_b96 v[0:2], v8, s[2:3]
	s_waitcnt vmcnt(0)
	v_lshrrev_b32_e32 v3, 16, v1
	v_mov_b32_e32 v4, v1
	s_delay_alu instid0(VALU_DEP_2)
	v_dual_mov_b32 v10, v1 :: v_dual_mov_b32 v5, v3
	v_cmpx_gt_f16_e32 v1, v3
; %bb.1:
	v_dual_mov_b32 v5, v1 :: v_dual_mov_b32 v4, v3
	v_dual_mov_b32 v10, v3 :: v_dual_mov_b32 v3, v1
; %bb.2:
	s_or_b32 exec_lo, exec_lo, s0
	v_lshrrev_b32_e32 v6, 16, v2
	v_mov_b32_e32 v1, v2
	v_mov_b32_e32 v11, v2
	s_mov_b32 s0, exec_lo
	s_delay_alu instid0(VALU_DEP_3)
	v_mov_b32_e32 v7, v6
	v_cmpx_gt_f16_e32 v2, v6
; %bb.3:
	v_mov_b32_e32 v1, v6
	s_delay_alu instid0(VALU_DEP_3)
	v_dual_mov_b32 v6, v2 :: v_dual_mov_b32 v11, v7
	v_mov_b32_e32 v7, v2
; %bb.4:
	s_or_b32 exec_lo, exec_lo, s0
	v_lshrrev_b32_e32 v12, 16, v0
	v_mov_b32_e32 v9, v10
	s_delay_alu instid0(VALU_DEP_2) | instskip(SKIP_1) | instid1(VALU_DEP_1)
	v_cmp_gt_f16_e32 vcc_lo, v0, v12
	v_cndmask_b32_e32 v2, v12, v0, vcc_lo
	v_cmp_gt_f16_e64 s0, v2, v10
	s_delay_alu instid0(VALU_DEP_1) | instskip(NEXT) | instid1(SALU_CYCLE_1)
	s_and_saveexec_b32 s1, s0
	s_xor_b32 s0, exec_lo, s1
; %bb.5:
	v_mov_b32_e32 v9, v2
	v_mov_b32_e32 v4, v2
	v_mov_b32_e32 v2, v10
; %bb.6:
	s_or_b32 exec_lo, exec_lo, s0
	v_cmp_ngt_f16_e64 s0, v5, v11
	s_delay_alu instid0(VALU_DEP_1) | instskip(NEXT) | instid1(SALU_CYCLE_1)
	s_and_saveexec_b32 s1, s0
	s_xor_b32 s0, exec_lo, s1
	s_delay_alu instid0(SALU_CYCLE_1)
	s_or_saveexec_b32 s0, s0
	v_mov_b32_e32 v10, v11
	s_xor_b32 exec_lo, exec_lo, s0
; %bb.7:
	v_dual_mov_b32 v10, v5 :: v_dual_mov_b32 v3, v11
	v_mov_b32_e32 v1, v5
	v_mov_b32_e32 v5, v11
; %bb.8:
	s_or_b32 exec_lo, exec_lo, s0
	s_delay_alu instid0(SALU_CYCLE_1)
	s_mov_b32 s1, exec_lo
	v_cmpx_gt_f16_e32 v4, v3
; %bb.9:
	v_mov_b32_e32 v11, v4
	v_dual_mov_b32 v5, v4 :: v_dual_mov_b32 v4, v3
	v_mov_b32_e32 v9, v3
	s_delay_alu instid0(VALU_DEP_3)
	v_mov_b32_e32 v3, v11
; %bb.10:
	s_or_b32 exec_lo, exec_lo, s1
	v_mov_b32_e32 v11, v1
	s_mov_b32 s1, exec_lo
	v_cmpx_gt_f16_e32 v1, v7
; %bb.11:
	v_dual_mov_b32 v11, v7 :: v_dual_mov_b32 v6, v1
	v_dual_mov_b32 v10, v7 :: v_dual_mov_b32 v7, v1
; %bb.12:
	s_or_b32 exec_lo, exec_lo, s1
	v_dual_cndmask_b32 v15, v0, v12 :: v_dual_mov_b32 v14, v9
	s_mov_b32 s1, exec_lo
	s_delay_alu instid0(VALU_DEP_1) | instskip(SKIP_2) | instid1(VALU_DEP_2)
	v_cmp_gt_f16_e32 vcc_lo, v15, v2
	v_cndmask_b32_e32 v13, v2, v15, vcc_lo
	v_cndmask_b32_e32 v12, v2, v15, vcc_lo
	v_cmpx_gt_f16_e32 v13, v9
; %bb.13:
	v_mov_b32_e32 v14, v13
	v_mov_b32_e32 v4, v13
	v_mov_b32_e32 v13, v9
	v_mov_b32_e32 v12, v9
; %bb.14:
	s_or_b32 exec_lo, exec_lo, s1
	v_add_co_u32 v0, s0, s2, v8
	s_delay_alu instid0(VALU_DEP_1) | instskip(SKIP_1) | instid1(VALU_DEP_1)
	v_add_co_ci_u32_e64 v1, null, s3, 0, s0
	v_cmp_ngt_f16_e64 s0, v5, v10
	s_and_saveexec_b32 s1, s0
	s_delay_alu instid0(SALU_CYCLE_1) | instskip(NEXT) | instid1(SALU_CYCLE_1)
	s_xor_b32 s0, exec_lo, s1
	s_or_saveexec_b32 s0, s0
	v_mov_b32_e32 v8, v10
	s_xor_b32 exec_lo, exec_lo, s0
; %bb.15:
	v_dual_mov_b32 v8, v5 :: v_dual_mov_b32 v3, v10
	v_mov_b32_e32 v11, v5
	v_mov_b32_e32 v5, v10
; %bb.16:
	s_or_b32 exec_lo, exec_lo, s0
	v_cndmask_b32_e32 v2, v15, v2, vcc_lo
	s_delay_alu instid0(VALU_DEP_3) | instskip(SKIP_4) | instid1(VALU_DEP_4)
	v_cmp_gt_f16_e32 vcc_lo, v11, v7
	v_cmp_gt_f16_e64 s0, v4, v3
	v_cndmask_b32_e32 v10, v11, v7, vcc_lo
	v_cndmask_b32_e32 v7, v8, v7, vcc_lo
	v_cmp_gt_f16_e64 s1, v2, v12
	v_cndmask_b32_e64 v5, v5, v4, s0
	v_cndmask_b32_e64 v8, v14, v3, s0
	;; [unrolled: 1-line block ×3, first 2 shown]
	v_cndmask_b32_e32 v6, v6, v11, vcc_lo
	v_cndmask_b32_e64 v9, v13, v2, s1
	v_cmp_gt_f16_e64 s0, v5, v7
	v_cndmask_b32_e64 v2, v2, v12, s1
	s_delay_alu instid0(VALU_DEP_3) | instskip(NEXT) | instid1(VALU_DEP_3)
	v_cmp_gt_f16_e64 s2, v9, v8
	v_cndmask_b32_e64 v4, v10, v5, s0
	v_cndmask_b32_e64 v5, v5, v7, s0
	s_delay_alu instid0(VALU_DEP_3) | instskip(SKIP_1) | instid1(VALU_DEP_4)
	v_cndmask_b32_e64 v3, v3, v9, s2
	v_cndmask_b32_e64 v7, v9, v8, s2
	v_perm_b32 v4, v6, v4, 0x5040100
	s_delay_alu instid0(VALU_DEP_3) | instskip(NEXT) | instid1(VALU_DEP_3)
	v_perm_b32 v3, v5, v3, 0x5040100
	v_perm_b32 v2, v7, v2, 0x5040100
	global_store_b96 v[0:1], v[2:4], off
	s_nop 0
	s_sendmsg sendmsg(MSG_DEALLOC_VGPRS)
	s_endpgm
	.section	.rodata,"a",@progbits
	.p2align	6, 0x0
	.amdhsa_kernel _Z9sort_keysILj256ELj6E6__halfN10test_utils4lessEEvPT1_T2_
		.amdhsa_group_segment_fixed_size 0
		.amdhsa_private_segment_fixed_size 0
		.amdhsa_kernarg_size 12
		.amdhsa_user_sgpr_count 15
		.amdhsa_user_sgpr_dispatch_ptr 0
		.amdhsa_user_sgpr_queue_ptr 0
		.amdhsa_user_sgpr_kernarg_segment_ptr 1
		.amdhsa_user_sgpr_dispatch_id 0
		.amdhsa_user_sgpr_private_segment_size 0
		.amdhsa_wavefront_size32 1
		.amdhsa_uses_dynamic_stack 0
		.amdhsa_enable_private_segment 0
		.amdhsa_system_sgpr_workgroup_id_x 1
		.amdhsa_system_sgpr_workgroup_id_y 0
		.amdhsa_system_sgpr_workgroup_id_z 0
		.amdhsa_system_sgpr_workgroup_info 0
		.amdhsa_system_vgpr_workitem_id 0
		.amdhsa_next_free_vgpr 16
		.amdhsa_next_free_sgpr 16
		.amdhsa_reserve_vcc 1
		.amdhsa_float_round_mode_32 0
		.amdhsa_float_round_mode_16_64 0
		.amdhsa_float_denorm_mode_32 3
		.amdhsa_float_denorm_mode_16_64 3
		.amdhsa_dx10_clamp 1
		.amdhsa_ieee_mode 1
		.amdhsa_fp16_overflow 0
		.amdhsa_workgroup_processor_mode 1
		.amdhsa_memory_ordered 1
		.amdhsa_forward_progress 0
		.amdhsa_shared_vgpr_count 0
		.amdhsa_exception_fp_ieee_invalid_op 0
		.amdhsa_exception_fp_denorm_src 0
		.amdhsa_exception_fp_ieee_div_zero 0
		.amdhsa_exception_fp_ieee_overflow 0
		.amdhsa_exception_fp_ieee_underflow 0
		.amdhsa_exception_fp_ieee_inexact 0
		.amdhsa_exception_int_div_zero 0
	.end_amdhsa_kernel
	.section	.text._Z9sort_keysILj256ELj6E6__halfN10test_utils4lessEEvPT1_T2_,"axG",@progbits,_Z9sort_keysILj256ELj6E6__halfN10test_utils4lessEEvPT1_T2_,comdat
.Lfunc_end1:
	.size	_Z9sort_keysILj256ELj6E6__halfN10test_utils4lessEEvPT1_T2_, .Lfunc_end1-_Z9sort_keysILj256ELj6E6__halfN10test_utils4lessEEvPT1_T2_
                                        ; -- End function
	.section	.AMDGPU.csdata,"",@progbits
; Kernel info:
; codeLenInByte = 664
; NumSgprs: 18
; NumVgprs: 16
; ScratchSize: 0
; MemoryBound: 0
; FloatMode: 240
; IeeeMode: 1
; LDSByteSize: 0 bytes/workgroup (compile time only)
; SGPRBlocks: 2
; VGPRBlocks: 1
; NumSGPRsForWavesPerEU: 18
; NumVGPRsForWavesPerEU: 16
; Occupancy: 16
; WaveLimiterHint : 0
; COMPUTE_PGM_RSRC2:SCRATCH_EN: 0
; COMPUTE_PGM_RSRC2:USER_SGPR: 15
; COMPUTE_PGM_RSRC2:TRAP_HANDLER: 0
; COMPUTE_PGM_RSRC2:TGID_X_EN: 1
; COMPUTE_PGM_RSRC2:TGID_Y_EN: 0
; COMPUTE_PGM_RSRC2:TGID_Z_EN: 0
; COMPUTE_PGM_RSRC2:TIDIG_COMP_CNT: 0
	.section	.text._Z9sort_keysILj256ELj4EN10test_utils16custom_test_typeIiEENS0_4lessEEvPT1_T2_,"axG",@progbits,_Z9sort_keysILj256ELj4EN10test_utils16custom_test_typeIiEENS0_4lessEEvPT1_T2_,comdat
	.protected	_Z9sort_keysILj256ELj4EN10test_utils16custom_test_typeIiEENS0_4lessEEvPT1_T2_ ; -- Begin function _Z9sort_keysILj256ELj4EN10test_utils16custom_test_typeIiEENS0_4lessEEvPT1_T2_
	.globl	_Z9sort_keysILj256ELj4EN10test_utils16custom_test_typeIiEENS0_4lessEEvPT1_T2_
	.p2align	8
	.type	_Z9sort_keysILj256ELj4EN10test_utils16custom_test_typeIiEENS0_4lessEEvPT1_T2_,@function
_Z9sort_keysILj256ELj4EN10test_utils16custom_test_typeIiEENS0_4lessEEvPT1_T2_: ; @_Z9sort_keysILj256ELj4EN10test_utils16custom_test_typeIiEENS0_4lessEEvPT1_T2_
; %bb.0:
	s_load_b64 s[0:1], s[0:1], 0x0
	s_mov_b32 s3, 0
	s_lshl_b32 s2, s15, 10
	v_lshlrev_b32_e32 v16, 5, v0
	s_lshl_b64 s[2:3], s[2:3], 3
	s_waitcnt lgkmcnt(0)
	s_add_u32 s2, s0, s2
	s_addc_u32 s3, s1, s3
	s_clause 0x1
	global_load_b128 v[4:7], v16, s[2:3]
	global_load_b128 v[10:13], v16, s[2:3] offset:16
	s_waitcnt vmcnt(1)
	v_cmp_eq_u32_e32 vcc_lo, v6, v4
	v_cmp_lt_i32_e64 s0, v7, v5
	v_cmp_lt_i32_e64 s1, v6, v4
	v_dual_mov_b32 v2, v6 :: v_dual_mov_b32 v15, v5
	v_dual_mov_b32 v3, v7 :: v_dual_mov_b32 v14, v4
	v_mov_b32_e32 v0, v5
	s_and_b32 s0, vcc_lo, s0
	s_delay_alu instid0(SALU_CYCLE_1) | instskip(NEXT) | instid1(SALU_CYCLE_1)
	s_or_b32 s1, s1, s0
	s_and_saveexec_b32 s0, s1
; %bb.1:
	v_dual_mov_b32 v2, v4 :: v_dual_mov_b32 v3, v5
	v_dual_mov_b32 v15, v7 :: v_dual_mov_b32 v14, v6
	;; [unrolled: 1-line block ×3, first 2 shown]
	v_mov_b32_e32 v6, v4
; %bb.2:
	s_or_b32 exec_lo, exec_lo, s0
	s_waitcnt vmcnt(0)
	v_cmp_eq_u32_e32 vcc_lo, v12, v10
	v_cmp_lt_i32_e64 s0, v13, v11
	v_cmp_lt_i32_e64 s1, v12, v10
	v_dual_mov_b32 v5, v13 :: v_dual_mov_b32 v4, v12
	v_dual_mov_b32 v8, v10 :: v_dual_mov_b32 v9, v11
	s_delay_alu instid0(VALU_DEP_4)
	s_and_b32 s0, vcc_lo, s0
	s_delay_alu instid0(VALU_DEP_3) | instid1(SALU_CYCLE_1)
	s_or_b32 s1, s1, s0
	s_delay_alu instid0(SALU_CYCLE_1)
	s_and_saveexec_b32 s0, s1
; %bb.3:
	v_dual_mov_b32 v5, v11 :: v_dual_mov_b32 v4, v10
	v_dual_mov_b32 v8, v12 :: v_dual_mov_b32 v9, v13
	;; [unrolled: 1-line block ×3, first 2 shown]
; %bb.4:
	s_or_b32 exec_lo, exec_lo, s0
	s_delay_alu instid0(VALU_DEP_1) | instskip(NEXT) | instid1(VALU_DEP_2)
	v_cmp_eq_u32_e32 vcc_lo, v10, v6
	v_cmp_lt_i32_e64 s0, v11, v7
	v_cmp_lt_i32_e64 s1, v10, v6
	v_dual_mov_b32 v13, v11 :: v_dual_mov_b32 v12, v10
	s_delay_alu instid0(VALU_DEP_3)
	s_and_b32 s0, vcc_lo, s0
	s_delay_alu instid0(VALU_DEP_2) | instid1(SALU_CYCLE_1)
	s_or_b32 s0, s1, s0
	s_delay_alu instid0(SALU_CYCLE_1) | instskip(NEXT) | instid1(SALU_CYCLE_1)
	s_and_saveexec_b32 s1, s0
	s_xor_b32 s0, exec_lo, s1
; %bb.5:
	v_dual_mov_b32 v12, v2 :: v_dual_mov_b32 v13, v3
	v_dual_mov_b32 v9, v3 :: v_dual_mov_b32 v8, v2
	;; [unrolled: 1-line block ×4, first 2 shown]
; %bb.6:
	s_or_b32 exec_lo, exec_lo, s0
	s_delay_alu instid0(VALU_DEP_1) | instskip(NEXT) | instid1(VALU_DEP_2)
	v_cmp_eq_u32_e32 vcc_lo, v6, v14
	v_cmp_lt_i32_e64 s0, v7, v0
	v_cmp_lt_i32_e64 s1, v6, v14
	v_dual_mov_b32 v0, v14 :: v_dual_mov_b32 v1, v15
	s_delay_alu instid0(VALU_DEP_3)
	s_and_b32 s0, vcc_lo, s0
	s_delay_alu instid0(VALU_DEP_2) | instid1(SALU_CYCLE_1)
	s_or_b32 s1, s1, s0
	s_delay_alu instid0(SALU_CYCLE_1)
	s_and_saveexec_b32 s0, s1
; %bb.7:
	v_dual_mov_b32 v2, v14 :: v_dual_mov_b32 v3, v15
	v_dual_mov_b32 v0, v6 :: v_dual_mov_b32 v1, v7
	;; [unrolled: 1-line block ×3, first 2 shown]
; %bb.8:
	s_or_b32 exec_lo, exec_lo, s0
	v_cmp_eq_u32_e32 vcc_lo, v4, v12
	v_cmp_lt_i32_e64 s0, v5, v13
	v_add_co_u32 v14, s1, s2, v16
	s_delay_alu instid0(VALU_DEP_1)
	v_add_co_ci_u32_e64 v15, null, s3, 0, s1
	v_cmp_lt_i32_e64 s1, v4, v12
	v_dual_mov_b32 v11, v5 :: v_dual_mov_b32 v10, v4
	s_and_b32 s0, vcc_lo, s0
	s_delay_alu instid0(VALU_DEP_2) | instid1(SALU_CYCLE_1)
	s_or_b32 s1, s1, s0
	s_delay_alu instid0(SALU_CYCLE_1)
	s_and_saveexec_b32 s0, s1
; %bb.9:
	v_dual_mov_b32 v11, v9 :: v_dual_mov_b32 v10, v8
	v_dual_mov_b32 v9, v5 :: v_dual_mov_b32 v8, v4
	;; [unrolled: 1-line block ×3, first 2 shown]
; %bb.10:
	s_or_b32 exec_lo, exec_lo, s0
	s_delay_alu instid0(VALU_DEP_1) | instskip(NEXT) | instid1(VALU_DEP_2)
	v_cmp_eq_u32_e32 vcc_lo, v12, v6
	v_cmp_lt_i32_e64 s0, v13, v7
	v_cmp_lt_i32_e64 s1, v12, v6
	s_delay_alu instid0(VALU_DEP_2)
	s_and_b32 s0, vcc_lo, s0
	s_delay_alu instid0(VALU_DEP_1) | instid1(SALU_CYCLE_1)
	s_or_b32 s1, s1, s0
	s_delay_alu instid0(SALU_CYCLE_1)
	s_and_saveexec_b32 s0, s1
; %bb.11:
	v_dual_mov_b32 v9, v3 :: v_dual_mov_b32 v8, v2
	v_dual_mov_b32 v2, v12 :: v_dual_mov_b32 v3, v13
; %bb.12:
	s_or_b32 exec_lo, exec_lo, s0
	s_clause 0x1
	global_store_b128 v[14:15], v[0:3], off
	global_store_b128 v[14:15], v[8:11], off offset:16
	s_nop 0
	s_sendmsg sendmsg(MSG_DEALLOC_VGPRS)
	s_endpgm
	.section	.rodata,"a",@progbits
	.p2align	6, 0x0
	.amdhsa_kernel _Z9sort_keysILj256ELj4EN10test_utils16custom_test_typeIiEENS0_4lessEEvPT1_T2_
		.amdhsa_group_segment_fixed_size 0
		.amdhsa_private_segment_fixed_size 0
		.amdhsa_kernarg_size 12
		.amdhsa_user_sgpr_count 15
		.amdhsa_user_sgpr_dispatch_ptr 0
		.amdhsa_user_sgpr_queue_ptr 0
		.amdhsa_user_sgpr_kernarg_segment_ptr 1
		.amdhsa_user_sgpr_dispatch_id 0
		.amdhsa_user_sgpr_private_segment_size 0
		.amdhsa_wavefront_size32 1
		.amdhsa_uses_dynamic_stack 0
		.amdhsa_enable_private_segment 0
		.amdhsa_system_sgpr_workgroup_id_x 1
		.amdhsa_system_sgpr_workgroup_id_y 0
		.amdhsa_system_sgpr_workgroup_id_z 0
		.amdhsa_system_sgpr_workgroup_info 0
		.amdhsa_system_vgpr_workitem_id 0
		.amdhsa_next_free_vgpr 17
		.amdhsa_next_free_sgpr 16
		.amdhsa_reserve_vcc 1
		.amdhsa_float_round_mode_32 0
		.amdhsa_float_round_mode_16_64 0
		.amdhsa_float_denorm_mode_32 3
		.amdhsa_float_denorm_mode_16_64 3
		.amdhsa_dx10_clamp 1
		.amdhsa_ieee_mode 1
		.amdhsa_fp16_overflow 0
		.amdhsa_workgroup_processor_mode 1
		.amdhsa_memory_ordered 1
		.amdhsa_forward_progress 0
		.amdhsa_shared_vgpr_count 0
		.amdhsa_exception_fp_ieee_invalid_op 0
		.amdhsa_exception_fp_denorm_src 0
		.amdhsa_exception_fp_ieee_div_zero 0
		.amdhsa_exception_fp_ieee_overflow 0
		.amdhsa_exception_fp_ieee_underflow 0
		.amdhsa_exception_fp_ieee_inexact 0
		.amdhsa_exception_int_div_zero 0
	.end_amdhsa_kernel
	.section	.text._Z9sort_keysILj256ELj4EN10test_utils16custom_test_typeIiEENS0_4lessEEvPT1_T2_,"axG",@progbits,_Z9sort_keysILj256ELj4EN10test_utils16custom_test_typeIiEENS0_4lessEEvPT1_T2_,comdat
.Lfunc_end2:
	.size	_Z9sort_keysILj256ELj4EN10test_utils16custom_test_typeIiEENS0_4lessEEvPT1_T2_, .Lfunc_end2-_Z9sort_keysILj256ELj4EN10test_utils16custom_test_typeIiEENS0_4lessEEvPT1_T2_
                                        ; -- End function
	.section	.AMDGPU.csdata,"",@progbits
; Kernel info:
; codeLenInByte = 616
; NumSgprs: 18
; NumVgprs: 17
; ScratchSize: 0
; MemoryBound: 0
; FloatMode: 240
; IeeeMode: 1
; LDSByteSize: 0 bytes/workgroup (compile time only)
; SGPRBlocks: 2
; VGPRBlocks: 2
; NumSGPRsForWavesPerEU: 18
; NumVGPRsForWavesPerEU: 17
; Occupancy: 16
; WaveLimiterHint : 0
; COMPUTE_PGM_RSRC2:SCRATCH_EN: 0
; COMPUTE_PGM_RSRC2:USER_SGPR: 15
; COMPUTE_PGM_RSRC2:TRAP_HANDLER: 0
; COMPUTE_PGM_RSRC2:TGID_X_EN: 1
; COMPUTE_PGM_RSRC2:TGID_Y_EN: 0
; COMPUTE_PGM_RSRC2:TGID_Z_EN: 0
; COMPUTE_PGM_RSRC2:TIDIG_COMP_CNT: 0
	.section	.text._Z9sort_keysILj256ELj11EdN10test_utils4lessEEvPT1_T2_,"axG",@progbits,_Z9sort_keysILj256ELj11EdN10test_utils4lessEEvPT1_T2_,comdat
	.protected	_Z9sort_keysILj256ELj11EdN10test_utils4lessEEvPT1_T2_ ; -- Begin function _Z9sort_keysILj256ELj11EdN10test_utils4lessEEvPT1_T2_
	.globl	_Z9sort_keysILj256ELj11EdN10test_utils4lessEEvPT1_T2_
	.p2align	8
	.type	_Z9sort_keysILj256ELj11EdN10test_utils4lessEEvPT1_T2_,@function
_Z9sort_keysILj256ELj11EdN10test_utils4lessEEvPT1_T2_: ; @_Z9sort_keysILj256ELj11EdN10test_utils4lessEEvPT1_T2_
; %bb.0:
	s_load_b64 s[0:1], s[0:1], 0x0
	v_mul_u32_u24_e32 v0, 11, v0
	s_mov_b32 s3, 0
	s_mul_i32 s2, s15, 0xb00
	s_delay_alu instid0(SALU_CYCLE_1) | instskip(NEXT) | instid1(VALU_DEP_1)
	s_lshl_b64 s[2:3], s[2:3], 3
	v_lshlrev_b32_e32 v0, 3, v0
	s_waitcnt lgkmcnt(0)
	s_add_u32 s6, s0, s2
	s_addc_u32 s7, s1, s3
	s_clause 0x5
	global_load_b128 v[1:4], v0, s[6:7]
	global_load_b128 v[5:8], v0, s[6:7] offset:16
	global_load_b128 v[9:12], v0, s[6:7] offset:32
	;; [unrolled: 1-line block ×4, first 2 shown]
	global_load_b64 v[21:22], v0, s[6:7] offset:80
	s_waitcnt vmcnt(5)
	v_cmp_lt_f64_e32 vcc_lo, v[3:4], v[1:2]
	s_waitcnt vmcnt(4)
	v_cmp_lt_f64_e64 s0, v[7:8], v[5:6]
	s_waitcnt vmcnt(3)
	v_cmp_lt_f64_e64 s1, v[11:12], v[9:10]
	;; [unrolled: 2-line block ×4, first 2 shown]
	v_dual_cndmask_b32 v33, v3, v1 :: v_dual_cndmask_b32 v24, v2, v4
	v_cndmask_b32_e32 v23, v1, v3, vcc_lo
	v_cndmask_b32_e64 v26, v8, v6, s0
	v_cndmask_b32_e64 v28, v12, v10, s1
	;; [unrolled: 1-line block ×4, first 2 shown]
	v_cndmask_b32_e32 v34, v4, v2, vcc_lo
	v_cndmask_b32_e64 v25, v7, v5, s0
	v_cndmask_b32_e64 v6, v6, v8, s0
	;; [unrolled: 1-line block ×12, first 2 shown]
	v_cmp_lt_f64_e64 s0, v[5:6], v[33:34]
	v_cmp_lt_f64_e64 s1, v[7:8], v[25:26]
	;; [unrolled: 1-line block ×4, first 2 shown]
	s_waitcnt vmcnt(0)
	v_cmp_lt_f64_e64 s4, v[21:22], v[31:32]
	v_cndmask_b32_e64 v2, v6, v34, s0
	v_cndmask_b32_e64 v4, v8, v26, s1
	;; [unrolled: 1-line block ×18, first 2 shown]
	v_cmp_lt_f64_e32 vcc_lo, v[5:6], v[23:24]
	v_cmp_lt_f64_e64 s0, v[7:8], v[1:2]
	v_cmp_lt_f64_e64 s1, v[9:10], v[3:4]
	v_cmp_lt_f64_e64 s2, v[18:19], v[13:14]
	v_cmp_lt_f64_e64 s3, v[11:12], v[15:16]
	v_cndmask_b32_e64 v17, v22, v32, s4
	v_dual_cndmask_b32 v33, v6, v24 :: v_dual_cndmask_b32 v20, v24, v6
	v_cndmask_b32_e64 v25, v8, v2, s0
	v_cndmask_b32_e64 v27, v10, v4, s1
	v_cndmask_b32_e64 v29, v19, v14, s2
	v_cndmask_b32_e64 v24, v7, v1, s0
	v_cndmask_b32_e64 v2, v2, v8, s0
	v_cndmask_b32_e64 v1, v1, v7, s0
	v_cndmask_b32_e64 v26, v9, v3, s1
	v_cndmask_b32_e64 v4, v4, v10, s1
	v_cndmask_b32_e64 v3, v3, v9, s1
	v_cndmask_b32_e64 v7, v14, v19, s2
	v_dual_cndmask_b32 v19, v23, v5 :: v_dual_cndmask_b32 v32, v5, v23
	v_cndmask_b32_e64 v6, v13, v18, s2
	v_cndmask_b32_e64 v28, v18, v13, s2
	;; [unrolled: 1-line block ×7, first 2 shown]
	v_cmp_lt_f64_e64 s0, v[1:2], v[32:33]
	v_cmp_lt_f64_e64 s1, v[3:4], v[24:25]
	;; [unrolled: 1-line block ×5, first 2 shown]
	v_cndmask_b32_e64 v11, v2, v33, s0
	v_cndmask_b32_e64 v13, v4, v25, s1
	;; [unrolled: 1-line block ×18, first 2 shown]
	v_cmp_lt_f64_e32 vcc_lo, v[1:2], v[19:20]
	v_cmp_lt_f64_e64 s0, v[24:25], v[10:11]
	v_cmp_lt_f64_e64 s1, v[6:7], v[12:13]
	;; [unrolled: 1-line block ×4, first 2 shown]
	v_cndmask_b32_e64 v18, v17, v22, s4
	v_cndmask_b32_e64 v17, v16, v21, s4
	v_cndmask_b32_e32 v3, v20, v2, vcc_lo
	v_cndmask_b32_e64 v23, v25, v11, s0
	v_cndmask_b32_e64 v29, v7, v13, s1
	v_dual_cndmask_b32 v35, v2, v20 :: v_dual_cndmask_b32 v34, v1, v19
	v_cndmask_b32_e64 v22, v24, v10, s0
	v_cndmask_b32_e64 v11, v11, v25, s0
	v_cndmask_b32_e64 v10, v10, v24, s0
	v_cndmask_b32_e64 v28, v6, v12, s1
	v_cndmask_b32_e64 v7, v13, v7, s1
	v_cndmask_b32_e64 v6, v12, v6, s1
	v_cndmask_b32_e64 v13, v5, v27, s2
	v_cndmask_b32_e64 v12, v4, v26, s2
	v_cndmask_b32_e64 v31, v27, v5, s2
	v_cndmask_b32_e64 v30, v26, v4, s2
	v_cndmask_b32_e64 v5, v15, v9, s3
	v_cndmask_b32_e64 v4, v14, v8, s3
	v_cndmask_b32_e64 v33, v9, v15, s3
	v_cndmask_b32_e64 v32, v8, v14, s3
	v_cmp_lt_f64_e64 s0, v[10:11], v[34:35]
	v_cmp_lt_f64_e64 s1, v[6:7], v[22:23]
	v_cmp_lt_f64_e64 s2, v[12:13], v[28:29]
	v_cmp_lt_f64_e64 s3, v[4:5], v[30:31]
	v_cmp_lt_f64_e64 s4, v[17:18], v[32:33]
	v_cndmask_b32_e32 v2, v19, v1, vcc_lo
	v_cndmask_b32_e64 v9, v11, v35, s0
	v_cndmask_b32_e64 v15, v7, v23, s1
	;; [unrolled: 1-line block ×18, first 2 shown]
	v_cmp_lt_f64_e32 vcc_lo, v[10:11], v[2:3]
	v_cmp_lt_f64_e64 s0, v[6:7], v[8:9]
	v_cmp_lt_f64_e64 s1, v[12:13], v[14:15]
	;; [unrolled: 1-line block ×4, first 2 shown]
	v_cndmask_b32_e64 v16, v18, v33, s4
	v_dual_cndmask_b32 v35, v11, v3 :: v_dual_cndmask_b32 v34, v10, v2
	v_cndmask_b32_e64 v26, v7, v9, s0
	v_cndmask_b32_e64 v25, v6, v8, s0
	;; [unrolled: 1-line block ×6, first 2 shown]
	v_cndmask_b32_e32 v18, v3, v11, vcc_lo
	v_cndmask_b32_e64 v28, v13, v15, s1
	v_cndmask_b32_e64 v27, v12, v14, s1
	;; [unrolled: 1-line block ×10, first 2 shown]
	v_cndmask_b32_e32 v17, v2, v10, vcc_lo
	v_cndmask_b32_e64 v32, v4, v23, s3
	v_cmp_lt_f64_e64 s0, v[6:7], v[34:35]
	v_cmp_lt_f64_e64 s1, v[8:9], v[25:26]
	;; [unrolled: 1-line block ×5, first 2 shown]
	v_cndmask_b32_e64 v2, v7, v35, s0
	v_cndmask_b32_e64 v1, v6, v34, s0
	;; [unrolled: 1-line block ×18, first 2 shown]
	v_cmp_lt_f64_e32 vcc_lo, v[6:7], v[17:18]
	v_cmp_lt_f64_e64 s0, v[21:22], v[1:2]
	v_cmp_lt_f64_e64 s1, v[11:12], v[3:4]
	;; [unrolled: 1-line block ×4, first 2 shown]
	v_cndmask_b32_e64 v5, v16, v33, s4
	v_cndmask_b32_e32 v25, v18, v7, vcc_lo
	v_cndmask_b32_e64 v8, v22, v2, s0
	v_dual_cndmask_b32 v31, v7, v18 :: v_dual_cndmask_b32 v30, v6, v17
	v_cndmask_b32_e64 v7, v21, v1, s0
	v_cndmask_b32_e64 v2, v2, v22, s0
	;; [unrolled: 1-line block ×16, first 2 shown]
	v_cmp_lt_f64_e64 s0, v[1:2], v[30:31]
	v_cmp_lt_f64_e64 s1, v[11:12], v[7:8]
	;; [unrolled: 1-line block ×5, first 2 shown]
	v_cndmask_b32_e32 v24, v17, v6, vcc_lo
	v_cndmask_b32_e64 v14, v2, v31, s0
	v_cndmask_b32_e64 v13, v1, v30, s0
	v_cndmask_b32_e64 v2, v31, v2, s0
	v_cndmask_b32_e64 v1, v30, v1, s0
	v_cndmask_b32_e64 v36, v8, v12, s1
	v_cndmask_b32_e64 v35, v7, v11, s1
	v_cndmask_b32_e64 v18, v12, v8, s1
	v_cndmask_b32_e64 v32, v22, v27, s2
	v_cndmask_b32_e64 v17, v11, v7, s1
	v_cndmask_b32_e64 v31, v21, v26, s2
	v_cndmask_b32_e64 v27, v27, v22, s2
	v_cndmask_b32_e64 v26, v26, v21, s2
	v_cndmask_b32_e64 v23, v10, v29, s3
	v_cndmask_b32_e64 v22, v9, v28, s3
	v_cndmask_b32_e64 v29, v29, v10, s3
	v_cndmask_b32_e64 v28, v28, v9, s3
	v_cndmask_b32_e64 v38, v16, v5, s4
	v_cndmask_b32_e64 v37, v15, v4, s4
	v_cmp_lt_f64_e32 vcc_lo, v[1:2], v[24:25]
	v_cmp_lt_f64_e64 s0, v[35:36], v[13:14]
	v_cmp_lt_f64_e64 s1, v[26:27], v[17:18]
	;; [unrolled: 1-line block ×4, first 2 shown]
	v_cndmask_b32_e64 v33, v4, v15, s4
	v_cndmask_b32_e64 v34, v5, v16, s4
	v_dual_cndmask_b32 v4, v2, v25 :: v_dual_cndmask_b32 v3, v1, v24
	v_dual_cndmask_b32 v2, v25, v2 :: v_dual_cndmask_b32 v1, v24, v1
	v_cndmask_b32_e64 v8, v36, v14, s0
	v_cndmask_b32_e64 v7, v35, v13, s0
	v_cndmask_b32_e64 v6, v14, v36, s0
	v_cndmask_b32_e64 v5, v13, v35, s0
	v_cndmask_b32_e64 v12, v27, v18, s1
	v_cndmask_b32_e64 v11, v26, v17, s1
	v_cndmask_b32_e64 v10, v18, v27, s1
	v_cndmask_b32_e64 v9, v17, v26, s1
	v_cndmask_b32_e64 v16, v29, v32, s2
	v_cndmask_b32_e64 v15, v28, v31, s2
	v_cndmask_b32_e64 v14, v32, v29, s2
	v_cndmask_b32_e64 v13, v31, v28, s2
	v_cndmask_b32_e64 v20, v38, v23, s3
	v_cndmask_b32_e64 v19, v37, v22, s3
	v_cndmask_b32_e64 v18, v23, v38, s3
	v_cndmask_b32_e64 v17, v22, v37, s3
	s_clause 0x5
	global_store_b128 v0, v[1:4], s[6:7]
	global_store_b128 v0, v[5:8], s[6:7] offset:16
	global_store_b128 v0, v[9:12], s[6:7] offset:32
	;; [unrolled: 1-line block ×4, first 2 shown]
	global_store_b64 v0, v[33:34], s[6:7] offset:80
	s_nop 0
	s_sendmsg sendmsg(MSG_DEALLOC_VGPRS)
	s_endpgm
	.section	.rodata,"a",@progbits
	.p2align	6, 0x0
	.amdhsa_kernel _Z9sort_keysILj256ELj11EdN10test_utils4lessEEvPT1_T2_
		.amdhsa_group_segment_fixed_size 0
		.amdhsa_private_segment_fixed_size 0
		.amdhsa_kernarg_size 12
		.amdhsa_user_sgpr_count 15
		.amdhsa_user_sgpr_dispatch_ptr 0
		.amdhsa_user_sgpr_queue_ptr 0
		.amdhsa_user_sgpr_kernarg_segment_ptr 1
		.amdhsa_user_sgpr_dispatch_id 0
		.amdhsa_user_sgpr_private_segment_size 0
		.amdhsa_wavefront_size32 1
		.amdhsa_uses_dynamic_stack 0
		.amdhsa_enable_private_segment 0
		.amdhsa_system_sgpr_workgroup_id_x 1
		.amdhsa_system_sgpr_workgroup_id_y 0
		.amdhsa_system_sgpr_workgroup_id_z 0
		.amdhsa_system_sgpr_workgroup_info 0
		.amdhsa_system_vgpr_workitem_id 0
		.amdhsa_next_free_vgpr 39
		.amdhsa_next_free_sgpr 16
		.amdhsa_reserve_vcc 1
		.amdhsa_float_round_mode_32 0
		.amdhsa_float_round_mode_16_64 0
		.amdhsa_float_denorm_mode_32 3
		.amdhsa_float_denorm_mode_16_64 3
		.amdhsa_dx10_clamp 1
		.amdhsa_ieee_mode 1
		.amdhsa_fp16_overflow 0
		.amdhsa_workgroup_processor_mode 1
		.amdhsa_memory_ordered 1
		.amdhsa_forward_progress 0
		.amdhsa_shared_vgpr_count 0
		.amdhsa_exception_fp_ieee_invalid_op 0
		.amdhsa_exception_fp_denorm_src 0
		.amdhsa_exception_fp_ieee_div_zero 0
		.amdhsa_exception_fp_ieee_overflow 0
		.amdhsa_exception_fp_ieee_underflow 0
		.amdhsa_exception_fp_ieee_inexact 0
		.amdhsa_exception_int_div_zero 0
	.end_amdhsa_kernel
	.section	.text._Z9sort_keysILj256ELj11EdN10test_utils4lessEEvPT1_T2_,"axG",@progbits,_Z9sort_keysILj256ELj11EdN10test_utils4lessEEvPT1_T2_,comdat
.Lfunc_end3:
	.size	_Z9sort_keysILj256ELj11EdN10test_utils4lessEEvPT1_T2_, .Lfunc_end3-_Z9sort_keysILj256ELj11EdN10test_utils4lessEEvPT1_T2_
                                        ; -- End function
	.section	.AMDGPU.csdata,"",@progbits
; Kernel info:
; codeLenInByte = 2268
; NumSgprs: 18
; NumVgprs: 39
; ScratchSize: 0
; MemoryBound: 0
; FloatMode: 240
; IeeeMode: 1
; LDSByteSize: 0 bytes/workgroup (compile time only)
; SGPRBlocks: 2
; VGPRBlocks: 4
; NumSGPRsForWavesPerEU: 18
; NumVGPRsForWavesPerEU: 39
; Occupancy: 16
; WaveLimiterHint : 0
; COMPUTE_PGM_RSRC2:SCRATCH_EN: 0
; COMPUTE_PGM_RSRC2:USER_SGPR: 15
; COMPUTE_PGM_RSRC2:TRAP_HANDLER: 0
; COMPUTE_PGM_RSRC2:TGID_X_EN: 1
; COMPUTE_PGM_RSRC2:TGID_Y_EN: 0
; COMPUTE_PGM_RSRC2:TGID_Z_EN: 0
; COMPUTE_PGM_RSRC2:TIDIG_COMP_CNT: 0
	.section	.text._Z9sort_keysILj256ELj10EhN10test_utils4lessEEvPT1_T2_,"axG",@progbits,_Z9sort_keysILj256ELj10EhN10test_utils4lessEEvPT1_T2_,comdat
	.protected	_Z9sort_keysILj256ELj10EhN10test_utils4lessEEvPT1_T2_ ; -- Begin function _Z9sort_keysILj256ELj10EhN10test_utils4lessEEvPT1_T2_
	.globl	_Z9sort_keysILj256ELj10EhN10test_utils4lessEEvPT1_T2_
	.p2align	8
	.type	_Z9sort_keysILj256ELj10EhN10test_utils4lessEEvPT1_T2_,@function
_Z9sort_keysILj256ELj10EhN10test_utils4lessEEvPT1_T2_: ; @_Z9sort_keysILj256ELj10EhN10test_utils4lessEEvPT1_T2_
; %bb.0:
	s_load_b64 s[0:1], s[0:1], 0x0
	s_mulk_i32 s15, 0xa00
	v_mul_u32_u24_e32 v0, 10, v0
	s_waitcnt lgkmcnt(0)
	s_add_u32 s4, s0, s15
	s_addc_u32 s5, s1, 0
	s_clause 0x1
	global_load_b64 v[1:2], v0, s[4:5]
	global_load_u16 v3, v0, s[4:5] offset:8
	s_waitcnt vmcnt(1)
	v_lshrrev_b32_e32 v4, 8, v1
	v_perm_b32 v15, v2, v2, 0x7060405
	v_and_b32_e32 v5, 0xff, v1
	v_lshrrev_b32_e32 v10, 8, v2
	v_and_b32_e32 v14, 0xff, v2
	v_and_b32_e32 v6, 0xff, v4
	v_perm_b32 v4, v4, v1, 0x3020004
	s_delay_alu instid0(VALU_DEP_4) | instskip(NEXT) | instid1(VALU_DEP_3)
	v_and_b32_e32 v10, 0xff, v10
	v_cmp_lt_u16_e32 vcc_lo, v6, v5
	s_delay_alu instid0(VALU_DEP_3) | instskip(NEXT) | instid1(VALU_DEP_1)
	v_cndmask_b32_e32 v1, v1, v4, vcc_lo
	v_lshrrev_b32_e32 v4, 16, v1
	v_lshrrev_b32_e32 v8, 24, v1
	s_delay_alu instid0(VALU_DEP_2) | instskip(SKIP_1) | instid1(VALU_DEP_2)
	v_perm_b32 v7, 0, v4, 0xc0c0001
	v_and_b32_e32 v4, 0xff, v4
	v_lshlrev_b32_e32 v7, 16, v7
	s_delay_alu instid0(VALU_DEP_2) | instskip(NEXT) | instid1(VALU_DEP_2)
	v_cmp_lt_u16_e32 vcc_lo, v8, v4
	v_and_or_b32 v7, 0xffff, v1, v7
	s_delay_alu instid0(VALU_DEP_1) | instskip(SKIP_2) | instid1(VALU_DEP_3)
	v_cndmask_b32_e32 v1, v1, v7, vcc_lo
	v_cmp_lt_u16_e32 vcc_lo, v10, v14
	v_min_u16 v7, v8, v4
	v_lshrrev_b32_e32 v9, 16, v1
	v_cndmask_b32_e32 v2, v2, v15, vcc_lo
	v_max_u16 v11, v6, v5
	s_delay_alu instid0(VALU_DEP_4)
	v_lshlrev_b16 v12, 8, v7
	v_min_u16 v5, v6, v5
	v_and_b32_e32 v9, 0xffffff00, v9
	v_perm_b32 v15, v2, v2, 0x6070504
	v_and_b32_e32 v13, 0xff, v1
	v_cmp_lt_u16_e32 vcc_lo, v7, v11
	v_min_u16 v19, v7, v11
	v_or_b32_e32 v9, v11, v9
	v_lshlrev_b16 v18, 8, v5
	v_or_b32_e32 v12, v13, v12
	v_lshrrev_b32_e32 v13, 16, v2
	v_max_u16 v11, v7, v11
	v_lshlrev_b32_e32 v9, 16, v9
	v_or_b32_e32 v18, v19, v18
	v_and_b32_e32 v12, 0xffff, v12
	v_and_b32_e32 v13, 0xff, v13
	v_lshlrev_b16 v20, 8, v11
	s_delay_alu instid0(VALU_DEP_4) | instskip(NEXT) | instid1(VALU_DEP_4)
	v_and_b32_e32 v18, 0xffff, v18
	v_or_b32_e32 v9, v12, v9
	v_lshrrev_b32_e32 v12, 24, v2
	s_delay_alu instid0(VALU_DEP_2) | instskip(NEXT) | instid1(VALU_DEP_2)
	v_cndmask_b32_e32 v1, v1, v9, vcc_lo
	v_cmp_lt_u16_e32 vcc_lo, v12, v13
	v_min_u16 v9, v10, v14
	v_max_u16 v4, v8, v4
	v_cndmask_b32_e32 v2, v2, v15, vcc_lo
	v_lshrrev_b32_e32 v15, 16, v1
	s_delay_alu instid0(VALU_DEP_4) | instskip(NEXT) | instid1(VALU_DEP_4)
	v_lshlrev_b16 v16, 8, v9
	v_cmp_lt_u16_e32 vcc_lo, v9, v4
	s_delay_alu instid0(VALU_DEP_4) | instskip(NEXT) | instid1(VALU_DEP_4)
	v_and_b32_e32 v8, 0xffffff00, v2
	v_and_b32_e32 v15, 0xff, v15
	s_delay_alu instid0(VALU_DEP_2) | instskip(NEXT) | instid1(VALU_DEP_2)
	v_or_b32_e32 v8, v4, v8
	v_or_b32_e32 v15, v15, v16
	s_waitcnt vmcnt(0)
	v_and_b32_e32 v16, 0xff, v3
	s_delay_alu instid0(VALU_DEP_3) | instskip(NEXT) | instid1(VALU_DEP_3)
	v_and_b32_e32 v8, 0xffff, v8
	v_lshlrev_b32_e32 v15, 16, v15
	s_delay_alu instid0(VALU_DEP_2) | instskip(NEXT) | instid1(VALU_DEP_2)
	v_and_or_b32 v8, 0xffff0000, v2, v8
	v_and_or_b32 v15, 0xffff, v1, v15
	s_delay_alu instid0(VALU_DEP_1) | instskip(SKIP_3) | instid1(VALU_DEP_4)
	v_dual_cndmask_b32 v2, v2, v8 :: v_dual_cndmask_b32 v1, v1, v15
	v_min_u16 v15, v12, v13
	v_max_u16 v6, v10, v14
	v_lshrrev_b32_e32 v8, 8, v3
	v_lshrrev_b32_e32 v17, 16, v2
	v_and_b32_e32 v14, 0xff, v2
	v_lshlrev_b16 v10, 8, v15
	v_cmp_lt_u16_e32 vcc_lo, v15, v6
	v_and_b32_e32 v8, 0xff, v8
	v_and_b32_e32 v17, 0xffffff00, v17
	v_and_or_b32 v18, 0xffff0000, v1, v18
	v_or_b32_e32 v10, v14, v10
	s_delay_alu instid0(VALU_DEP_4) | instskip(NEXT) | instid1(VALU_DEP_4)
	v_min_u16 v21, v8, v16
	v_or_b32_e32 v14, v6, v17
	v_min_u16 v17, v9, v4
	s_delay_alu instid0(VALU_DEP_4)
	v_and_b32_e32 v10, 0xffff, v10
	v_max_u16 v4, v9, v4
	v_max_u16 v9, v15, v6
	v_lshlrev_b32_e32 v14, 16, v14
	v_cmp_lt_u16_e64 s0, v17, v11
	v_min_u16 v6, v15, v6
	s_delay_alu instid0(VALU_DEP_4) | instskip(NEXT) | instid1(VALU_DEP_4)
	v_lshlrev_b16 v23, 8, v9
	v_or_b32_e32 v10, v10, v14
	v_or_b32_e32 v14, v17, v20
	v_lshlrev_b16 v20, 8, v21
	v_cmp_lt_u16_e64 s1, v6, v4
	s_delay_alu instid0(VALU_DEP_4)
	v_cndmask_b32_e32 v2, v2, v10, vcc_lo
	v_cmp_lt_u16_e32 vcc_lo, v7, v5
	v_lshlrev_b32_e32 v10, 16, v14
	v_max_u16 v7, v12, v13
	v_lshlrev_b16 v13, 8, v4
	v_lshrrev_b32_e32 v12, 16, v2
	v_cndmask_b32_e32 v1, v1, v18, vcc_lo
	s_delay_alu instid0(VALU_DEP_4) | instskip(NEXT) | instid1(VALU_DEP_4)
	v_min_u16 v14, v21, v7
	v_or_b32_e32 v13, v6, v13
	s_delay_alu instid0(VALU_DEP_4) | instskip(NEXT) | instid1(VALU_DEP_4)
	v_and_b32_e32 v12, 0xff, v12
	v_and_or_b32 v10, 0xffff, v1, v10
	s_delay_alu instid0(VALU_DEP_3) | instskip(NEXT) | instid1(VALU_DEP_3)
	v_and_b32_e32 v13, 0xffff, v13
	v_or_b32_e32 v12, v12, v20
	s_delay_alu instid0(VALU_DEP_3)
	v_cndmask_b32_e64 v1, v1, v10, s0
	v_min_u16 v10, v17, v11
	v_cndmask_b32_e32 v20, v19, v5, vcc_lo
	v_cmp_lt_u16_e64 s0, v21, v7
	v_lshlrev_b32_e32 v12, 16, v12
	v_lshrrev_b32_e32 v15, 16, v1
	v_lshlrev_b16 v18, 8, v10
	v_and_b32_e32 v22, 0xff, v1
	v_max_u16 v11, v17, v11
	v_and_or_b32 v12, 0xffff, v2, v12
	v_and_b32_e32 v15, 0xffffff00, v15
	v_cndmask_b32_e32 v5, v5, v19, vcc_lo
	v_or_b32_e32 v18, v22, v18
	v_max_u16 v19, v10, v20
	v_cndmask_b32_e64 v2, v2, v12, s0
	v_or_b32_e32 v15, v20, v15
	v_or_b32_e32 v12, v14, v23
	v_and_b32_e32 v18, 0xffff, v18
	v_lshlrev_b16 v22, 8, v19
	v_and_or_b32 v13, 0xffff0000, v2, v13
	v_lshlrev_b32_e32 v15, 16, v15
	v_lshlrev_b32_e32 v12, 16, v12
	s_delay_alu instid0(VALU_DEP_3) | instskip(NEXT) | instid1(VALU_DEP_3)
	v_cndmask_b32_e64 v2, v2, v13, s1
	v_or_b32_e32 v15, v18, v15
	v_cmp_lt_u16_e64 s1, v10, v20
	v_perm_b32 v13, 0, v3, 0xc0c0001
	v_min_u16 v10, v10, v20
	v_and_or_b32 v12, 0xffff, v2, v12
	v_lshlrev_b16 v20, 8, v5
	v_cndmask_b32_e64 v1, v1, v15, s1
	v_cmp_lt_u16_e64 s1, v14, v9
	v_min_u16 v15, v6, v4
	v_max_u16 v4, v6, v4
	v_max_u16 v6, v14, v9
	v_lshrrev_b32_e32 v18, 16, v1
	v_cndmask_b32_e64 v2, v2, v12, s1
	v_cmp_lt_u16_e64 s1, v8, v16
	v_lshlrev_b16 v12, 8, v15
	v_max_u16 v8, v8, v16
	v_max_u16 v16, v21, v7
	v_and_b32_e32 v17, 0xffffff00, v2
	v_cndmask_b32_e64 v3, v3, v13, s1
	v_and_b32_e32 v13, 0xff, v18
	v_cmp_lt_u16_e64 s1, v15, v11
	v_min_u16 v9, v14, v9
	v_or_b32_e32 v20, v10, v20
	v_and_b32_e32 v18, 0xffffff00, v3
	v_or_b32_e32 v12, v13, v12
	v_or_b32_e32 v13, v11, v17
	v_min_u16 v14, v15, v11
	v_cmp_gt_u16_e32 vcc_lo, v7, v8
	v_or_b32_e32 v17, v7, v18
	v_lshlrev_b32_e32 v12, 16, v12
	v_and_b32_e32 v13, 0xffff, v13
	v_lshlrev_b16 v18, 8, v16
	v_max_u16 v11, v15, v11
	v_and_b32_e32 v17, 0xffff, v17
	v_and_or_b32 v12, 0xffff, v1, v12
	v_and_or_b32 v13, 0xffff0000, v2, v13
	s_delay_alu instid0(VALU_DEP_2) | instskip(NEXT) | instid1(VALU_DEP_2)
	v_cndmask_b32_e64 v1, v1, v12, s1
	v_cndmask_b32_e64 v2, v2, v13, s1
	v_and_or_b32 v12, 0xffff0000, v3, v17
	v_or_b32_e32 v13, v8, v18
	v_lshlrev_b16 v18, 8, v9
	s_delay_alu instid0(VALU_DEP_4)
	v_lshrrev_b32_e32 v17, 16, v2
	v_and_b32_e32 v21, 0xff, v2
	v_cndmask_b32_e64 v3, v3, v12, s0
	v_and_b32_e32 v12, 0xffff, v20
	v_cmp_lt_u16_e64 s0, v9, v4
	v_and_b32_e32 v17, 0xffffff00, v17
	v_or_b32_e32 v18, v21, v18
	v_and_b32_e32 v13, 0xffff, v13
	v_or_b32_e32 v21, v14, v22
	v_and_or_b32 v7, 0xffff0000, v1, v12
	v_or_b32_e32 v17, v4, v17
	v_and_b32_e32 v18, 0xffff, v18
	v_and_or_b32 v13, 0xffff0000, v3, v13
	v_lshlrev_b32_e32 v15, 16, v21
	v_max_u16 v20, v10, v5
	v_lshlrev_b32_e32 v17, 16, v17
	s_delay_alu instid0(VALU_DEP_4) | instskip(SKIP_2) | instid1(VALU_DEP_4)
	v_cndmask_b32_e32 v3, v3, v13, vcc_lo
	v_max_u16 v13, v9, v4
	v_min_u16 v4, v9, v4
	v_or_b32_e32 v17, v18, v17
	s_delay_alu instid0(VALU_DEP_2) | instskip(NEXT) | instid1(VALU_DEP_2)
	v_cmp_lt_u16_e64 s1, v4, v11
	v_cndmask_b32_e64 v2, v2, v17, s0
	v_cmp_lt_u16_e64 s0, v10, v5
	v_lshlrev_b16 v17, 8, v11
	v_min_u16 v5, v10, v5
	s_delay_alu instid0(VALU_DEP_4) | instskip(NEXT) | instid1(VALU_DEP_4)
	v_lshrrev_b32_e32 v12, 16, v2
	v_cndmask_b32_e64 v1, v1, v7, s0
	v_cndmask_b32_e32 v7, v16, v8, vcc_lo
	v_cmp_lt_u16_e64 s0, v14, v19
	v_or_b32_e32 v17, v4, v17
	v_and_b32_e32 v12, 0xff, v12
	v_and_or_b32 v9, 0xffff, v1, v15
	v_lshlrev_b16 v15, 8, v7
	v_min_u16 v23, v7, v6
	v_dual_cndmask_b32 v8, v8, v16 :: v_dual_and_b32 v17, 0xffff, v17
	s_delay_alu instid0(VALU_DEP_4) | instskip(NEXT) | instid1(VALU_DEP_4)
	v_cndmask_b32_e64 v1, v1, v9, s0
	v_or_b32_e32 v12, v12, v15
	v_min_u16 v15, v14, v19
	v_cmp_lt_u16_e64 s0, v7, v6
	v_lshlrev_b16 v9, 8, v13
	v_lshrrev_b32_e32 v18, 16, v1
	v_lshlrev_b32_e32 v12, 16, v12
	v_lshlrev_b16 v21, 8, v15
	v_and_b32_e32 v22, 0xff, v1
	v_or_b32_e32 v9, v23, v9
	v_and_b32_e32 v18, 0xffffff00, v18
	v_and_or_b32 v12, 0xffff, v2, v12
	v_max_u16 v14, v14, v19
	v_or_b32_e32 v21, v22, v21
	v_lshlrev_b32_e32 v9, 16, v9
	v_or_b32_e32 v18, v20, v18
	v_cndmask_b32_e64 v2, v2, v12, s0
	v_max_u16 v7, v7, v6
	v_and_b32_e32 v12, 0xffff, v21
	v_max_u16 v10, v15, v20
	v_lshlrev_b32_e32 v18, 16, v18
	v_and_or_b32 v17, 0xffff0000, v2, v17
	s_delay_alu instid0(VALU_DEP_3) | instskip(NEXT) | instid1(VALU_DEP_3)
	v_lshlrev_b16 v22, 8, v10
	v_or_b32_e32 v12, v12, v18
	s_delay_alu instid0(VALU_DEP_3) | instskip(SKIP_2) | instid1(VALU_DEP_3)
	v_cndmask_b32_e64 v2, v2, v17, s1
	v_cmp_lt_u16_e64 s1, v15, v20
	v_min_u16 v20, v15, v20
	v_and_or_b32 v9, 0xffff, v2, v9
	s_delay_alu instid0(VALU_DEP_3) | instskip(SKIP_3) | instid1(VALU_DEP_4)
	v_cndmask_b32_e64 v1, v1, v12, s1
	v_cmp_lt_u16_e64 s1, v23, v13
	v_min_u16 v12, v4, v11
	v_max_u16 v4, v4, v11
	v_lshrrev_b32_e32 v17, 16, v1
	s_delay_alu instid0(VALU_DEP_4) | instskip(NEXT) | instid1(VALU_DEP_4)
	v_cndmask_b32_e64 v2, v2, v9, s1
	v_lshlrev_b16 v9, 8, v12
	v_cmp_lt_u16_e64 s1, v12, v14
	s_delay_alu instid0(VALU_DEP_4) | instskip(NEXT) | instid1(VALU_DEP_4)
	v_and_b32_e32 v17, 0xff, v17
	v_and_b32_e32 v18, 0xffffff00, v2
	s_delay_alu instid0(VALU_DEP_2) | instskip(NEXT) | instid1(VALU_DEP_2)
	v_or_b32_e32 v9, v17, v9
	v_or_b32_e32 v17, v14, v18
	s_delay_alu instid0(VALU_DEP_2) | instskip(NEXT) | instid1(VALU_DEP_2)
	v_lshlrev_b32_e32 v9, 16, v9
	v_and_b32_e32 v17, 0xffff, v17
	s_delay_alu instid0(VALU_DEP_2) | instskip(NEXT) | instid1(VALU_DEP_2)
	v_and_or_b32 v9, 0xffff, v1, v9
	v_and_or_b32 v17, 0xffff0000, v2, v17
	s_delay_alu instid0(VALU_DEP_2) | instskip(NEXT) | instid1(VALU_DEP_2)
	v_cndmask_b32_e64 v1, v1, v9, s1
	v_cndmask_b32_e64 v2, v2, v17, s1
	v_min_u16 v9, v23, v13
	v_max_u16 v13, v23, v13
	s_delay_alu instid0(VALU_DEP_3) | instskip(NEXT) | instid1(VALU_DEP_3)
	v_lshrrev_b32_e32 v17, 16, v2
	v_lshlrev_b16 v11, 8, v9
	v_and_b32_e32 v18, 0xff, v2
	v_cmp_lt_u16_e32 vcc_lo, v9, v4
	v_min_u16 v19, v9, v4
	v_and_b32_e32 v17, 0xffffff00, v17
	s_delay_alu instid0(VALU_DEP_4) | instskip(SKIP_2) | instid1(VALU_DEP_4)
	v_or_b32_e32 v11, v18, v11
	v_max_u16 v18, v12, v14
	v_min_u16 v12, v12, v14
	v_or_b32_e32 v17, v4, v17
	v_max_u16 v4, v9, v4
	v_and_b32_e32 v11, 0xffff, v11
	v_cmp_lt_u16_e64 s1, v19, v18
	v_lshlrev_b16 v14, 8, v7
	v_lshlrev_b32_e32 v17, 16, v17
	v_lshlrev_b16 v21, 8, v4
	v_min_u16 v23, v19, v18
	v_or_b32_e32 v22, v12, v22
	v_or_b32_e32 v14, v8, v14
	;; [unrolled: 1-line block ×3, first 2 shown]
	s_delay_alu instid0(VALU_DEP_3) | instskip(NEXT) | instid1(VALU_DEP_3)
	v_lshlrev_b32_e32 v22, 16, v22
	v_and_b32_e32 v14, 0xffff, v14
	s_delay_alu instid0(VALU_DEP_3) | instskip(SKIP_1) | instid1(VALU_DEP_2)
	v_cndmask_b32_e32 v2, v2, v11, vcc_lo
	v_min_u16 v11, v8, v7
	v_lshrrev_b32_e32 v16, 16, v2
	s_delay_alu instid0(VALU_DEP_2) | instskip(SKIP_1) | instid1(VALU_DEP_3)
	v_lshlrev_b16 v17, 8, v11
	v_cmp_lt_u16_e32 vcc_lo, v11, v13
	v_and_b32_e32 v16, 0xff, v16
	s_delay_alu instid0(VALU_DEP_1) | instskip(SKIP_2) | instid1(VALU_DEP_3)
	v_or_b32_e32 v16, v16, v17
	v_lshlrev_b16 v17, 8, v18
	v_max_u16 v18, v19, v18
	v_lshlrev_b32_e32 v16, 16, v16
	s_delay_alu instid0(VALU_DEP_3) | instskip(SKIP_2) | instid1(VALU_DEP_4)
	v_or_b32_e32 v9, v19, v17
	v_min_u16 v17, v11, v13
	v_max_u16 v11, v11, v13
	v_and_or_b32 v16, 0xffff, v2, v16
	s_delay_alu instid0(VALU_DEP_1) | instskip(NEXT) | instid1(VALU_DEP_4)
	v_dual_cndmask_b32 v2, v2, v16 :: v_dual_and_b32 v9, 0xffff, v9
	v_or_b32_e32 v16, v17, v21
	s_delay_alu instid0(VALU_DEP_2) | instskip(NEXT) | instid1(VALU_DEP_2)
	v_and_or_b32 v9, 0xffff0000, v2, v9
	v_lshlrev_b32_e32 v16, 16, v16
	s_delay_alu instid0(VALU_DEP_2) | instskip(SKIP_2) | instid1(VALU_DEP_3)
	v_cndmask_b32_e64 v2, v2, v9, s1
	v_and_b32_e32 v9, 0xffffff00, v3
	v_cmp_lt_u16_e64 s1, v17, v4
	v_and_or_b32 v16, 0xffff, v2, v16
	s_delay_alu instid0(VALU_DEP_3) | instskip(SKIP_1) | instid1(VALU_DEP_3)
	v_or_b32_e32 v6, v6, v9
	v_lshlrev_b16 v9, 8, v5
	v_cndmask_b32_e64 v2, v2, v16, s1
	s_delay_alu instid0(VALU_DEP_3) | instskip(SKIP_1) | instid1(VALU_DEP_4)
	v_and_b32_e32 v6, 0xffff, v6
	v_max_u16 v16, v12, v10
	v_or_b32_e32 v9, v20, v9
	v_cmp_lt_u16_e64 s1, v15, v5
	v_and_b32_e32 v21, 0xffffff00, v2
	v_and_or_b32 v6, 0xffff0000, v3, v6
	s_delay_alu instid0(VALU_DEP_4) | instskip(NEXT) | instid1(VALU_DEP_3)
	v_and_b32_e32 v9, 0xffff, v9
	v_or_b32_e32 v21, v16, v21
	s_delay_alu instid0(VALU_DEP_3)
	v_cndmask_b32_e64 v3, v3, v6, s0
	v_cmp_lt_u16_e64 s0, v8, v7
	v_max_u16 v7, v8, v7
	v_min_u16 v8, v17, v4
	v_and_b32_e32 v21, 0xffff, v21
	v_and_or_b32 v14, 0xffff0000, v3, v14
	v_and_or_b32 v9, 0xffff0000, v1, v9
	v_min_u16 v6, v12, v10
	v_lshlrev_b16 v19, 8, v8
	v_and_or_b32 v21, 0xffff0000, v2, v21
	v_cndmask_b32_e64 v3, v3, v14, s0
	v_cmp_lt_u16_e64 s0, v23, v16
	v_cndmask_b32_e64 v1, v1, v9, s1
	v_cmp_lt_u16_e64 s2, v8, v18
	v_max_u16 v4, v17, v4
	v_and_b32_e32 v14, 0xffffff00, v3
	v_cndmask_b32_e64 v2, v2, v21, s0
	v_lshlrev_b16 v21, 8, v11
	s_delay_alu instid0(VALU_DEP_3) | instskip(NEXT) | instid1(VALU_DEP_3)
	v_or_b32_e32 v14, v13, v14
	v_lshrrev_b32_e32 v24, 16, v2
	v_and_b32_e32 v25, 0xff, v2
	s_delay_alu instid0(VALU_DEP_4) | instskip(NEXT) | instid1(VALU_DEP_4)
	v_or_b32_e32 v21, v7, v21
	v_and_b32_e32 v14, 0xffff, v14
	s_delay_alu instid0(VALU_DEP_4) | instskip(NEXT) | instid1(VALU_DEP_4)
	v_and_b32_e32 v24, 0xffffff00, v24
	v_or_b32_e32 v19, v25, v19
	s_delay_alu instid0(VALU_DEP_3) | instskip(NEXT) | instid1(VALU_DEP_3)
	v_and_or_b32 v9, 0xffff0000, v3, v14
	v_or_b32_e32 v24, v18, v24
	s_delay_alu instid0(VALU_DEP_3)
	v_and_b32_e32 v14, 0xffff, v19
	v_and_b32_e32 v19, 0xffff, v21
	v_and_or_b32 v21, 0xffff, v1, v22
	v_cndmask_b32_e32 v3, v3, v9, vcc_lo
	v_lshlrev_b32_e32 v15, 16, v24
	v_cmp_lt_u16_e32 vcc_lo, v12, v10
	v_lshlrev_b16 v9, 8, v6
	v_cndmask_b32_e64 v12, v20, v5, s1
	v_and_or_b32 v10, 0xffff0000, v3, v19
	v_or_b32_e32 v14, v14, v15
	v_cndmask_b32_e32 v1, v1, v21, vcc_lo
	v_cmp_gt_u16_e32 vcc_lo, v13, v7
	v_max_u16 v19, v23, v16
	v_cndmask_b32_e64 v5, v5, v20, s1
	v_cndmask_b32_e64 v2, v2, v14, s2
	v_lshrrev_b32_e32 v13, 16, v1
	v_cndmask_b32_e32 v3, v3, v10, vcc_lo
	v_dual_cndmask_b32 v10, v11, v7 :: v_dual_and_b32 v15, 0xff, v1
	s_delay_alu instid0(VALU_DEP_4) | instskip(NEXT) | instid1(VALU_DEP_4)
	v_lshrrev_b32_e32 v14, 16, v2
	v_and_b32_e32 v13, 0xffffff00, v13
	v_lshlrev_b16 v22, 8, v19
	s_delay_alu instid0(VALU_DEP_4)
	v_lshlrev_b16 v21, 8, v10
	v_or_b32_e32 v9, v15, v9
	v_and_b32_e32 v14, 0xff, v14
	v_or_b32_e32 v13, v12, v13
	v_min_u16 v15, v8, v18
	v_cmp_lt_u16_e64 s2, v6, v12
	v_and_b32_e32 v9, 0xffff, v9
	v_or_b32_e32 v14, v14, v21
	v_lshlrev_b32_e32 v13, 16, v13
	v_max_u16 v8, v8, v18
	v_or_b32_e32 v18, v15, v22
	v_cmp_lt_u16_e64 s3, v15, v19
	v_lshlrev_b32_e32 v14, 16, v14
	v_or_b32_e32 v9, v9, v13
	v_lshlrev_b16 v13, 8, v8
	v_and_b32_e32 v17, 0xffff, v18
	v_lshlrev_b16 v18, 8, v23
	v_and_or_b32 v14, 0xffff, v2, v14
	v_cndmask_b32_e64 v1, v1, v9, s2
	v_cmp_lt_u16_e64 s2, v10, v4
	v_min_u16 v9, v10, v4
	v_min_u16 v16, v23, v16
	v_cndmask_b32_e32 v7, v7, v11, vcc_lo
	v_and_b32_e32 v11, 0xffffff00, v3
	v_cndmask_b32_e64 v2, v2, v14, s2
	v_lshrrev_b32_e32 v14, 16, v1
	v_or_b32_e32 v13, v9, v13
	v_cmp_lt_u16_e64 s1, v9, v8
	v_max_u16 v10, v10, v4
	v_and_or_b32 v17, 0xffff0000, v2, v17
	v_and_b32_e32 v14, 0xff, v14
	v_lshlrev_b32_e32 v13, 16, v13
	v_or_b32_e32 v4, v4, v11
	s_delay_alu instid0(VALU_DEP_4) | instskip(NEXT) | instid1(VALU_DEP_4)
	v_cndmask_b32_e64 v2, v2, v17, s3
	v_or_b32_e32 v14, v14, v18
	v_min_u16 v17, v6, v12
	v_lshlrev_b16 v18, 8, v5
	v_max_u16 v6, v6, v12
	v_and_or_b32 v13, 0xffff, v2, v13
	v_lshlrev_b32_e32 v14, 16, v14
	v_and_b32_e32 v4, 0xffff, v4
	v_or_b32_e32 v12, v17, v18
	v_max_u16 v18, v16, v6
	v_cndmask_b32_e64 v2, v2, v13, s1
	v_and_or_b32 v13, 0xffff, v1, v14
	v_lshlrev_b16 v14, 8, v6
	v_and_b32_e32 v12, 0xffff, v12
	v_min_u16 v21, v16, v6
	v_and_b32_e32 v20, 0xffffff00, v2
	v_cndmask_b32_e64 v1, v1, v13, s0
	v_or_b32_e32 v13, v16, v14
	v_cmp_lt_u16_e64 s0, v17, v5
	v_max_u16 v5, v17, v5
	v_or_b32_e32 v14, v18, v20
	v_and_or_b32 v12, 0xffff0000, v1, v12
	v_lshlrev_b32_e32 v13, 16, v13
	v_max_u16 v20, v15, v19
	v_and_or_b32 v4, 0xffff0000, v3, v4
	v_and_b32_e32 v14, 0xffff, v14
	v_cndmask_b32_e64 v1, v1, v12, s0
	v_min_u16 v12, v15, v19
	v_cmp_lt_u16_e64 s0, v16, v6
	v_min_u16 v6, v9, v8
	v_and_or_b32 v14, 0xffff0000, v2, v14
	v_and_or_b32 v13, 0xffff, v1, v13
	v_cmp_lt_u16_e32 vcc_lo, v12, v18
	v_lshlrev_b16 v15, 8, v21
	v_lshlrev_b16 v16, 8, v6
	v_cndmask_b32_e64 v3, v3, v4, s2
	v_cndmask_b32_e64 v1, v1, v13, s0
	v_cndmask_b32_e32 v2, v2, v14, vcc_lo
	v_cmp_lt_u16_e64 s0, v6, v20
	v_lshlrev_b16 v12, 8, v12
	s_delay_alu instid0(VALU_DEP_4) | instskip(NEXT) | instid1(VALU_DEP_4)
	v_lshrrev_b32_e32 v14, 16, v1
	v_lshrrev_b32_e32 v13, 16, v2
	v_and_b32_e32 v17, 0xff, v2
	v_and_b32_e32 v18, 0xff, v1
	s_delay_alu instid0(VALU_DEP_4) | instskip(NEXT) | instid1(VALU_DEP_4)
	v_and_b32_e32 v14, 0xffffff00, v14
	v_and_b32_e32 v13, 0xffffff00, v13
	s_delay_alu instid0(VALU_DEP_4) | instskip(NEXT) | instid1(VALU_DEP_4)
	v_or_b32_e32 v11, v17, v16
	v_or_b32_e32 v15, v18, v15
	v_lshlrev_b16 v16, 8, v10
	v_or_b32_e32 v14, v5, v14
	v_or_b32_e32 v13, v20, v13
	v_and_b32_e32 v11, 0xffff, v11
	v_and_b32_e32 v15, 0xffff, v15
	v_min_u16 v17, v7, v10
	v_lshlrev_b32_e32 v14, 16, v14
	v_lshlrev_b32_e32 v13, 16, v13
	s_delay_alu instid0(VALU_DEP_2) | instskip(NEXT) | instid1(VALU_DEP_2)
	v_or_b32_e32 v14, v15, v14
	v_or_b32_e32 v11, v11, v13
	;; [unrolled: 1-line block ×3, first 2 shown]
	s_delay_alu instid0(VALU_DEP_2) | instskip(SKIP_1) | instid1(VALU_DEP_3)
	v_cndmask_b32_e64 v2, v2, v11, s0
	v_cmp_lt_u16_e64 s0, v21, v5
	v_and_b32_e32 v5, 0xffff, v13
	v_lshlrev_b16 v11, 8, v17
	s_delay_alu instid0(VALU_DEP_4) | instskip(NEXT) | instid1(VALU_DEP_4)
	v_lshrrev_b32_e32 v4, 16, v2
	v_cndmask_b32_e64 v1, v1, v14, s0
	s_delay_alu instid0(VALU_DEP_4) | instskip(SKIP_1) | instid1(VALU_DEP_4)
	v_and_or_b32 v5, 0xffff0000, v3, v5
	v_cmp_lt_u16_e64 s0, v7, v10
	v_and_b32_e32 v4, 0xff, v4
	s_delay_alu instid0(VALU_DEP_4) | instskip(NEXT) | instid1(VALU_DEP_3)
	v_lshrrev_b32_e32 v6, 16, v1
	v_cndmask_b32_e64 v3, v3, v5, s0
	s_delay_alu instid0(VALU_DEP_3) | instskip(NEXT) | instid1(VALU_DEP_3)
	v_or_b32_e32 v4, v4, v11
	v_and_b32_e32 v6, 0xff, v6
	s_delay_alu instid0(VALU_DEP_3) | instskip(NEXT) | instid1(VALU_DEP_3)
	v_and_b32_e32 v7, 0xffffff00, v3
	v_lshlrev_b32_e32 v4, 16, v4
	s_delay_alu instid0(VALU_DEP_3) | instskip(SKIP_1) | instid1(VALU_DEP_3)
	v_or_b32_e32 v5, v6, v12
	v_max_u16 v6, v9, v8
	v_and_or_b32 v4, 0xffff, v2, v4
	s_delay_alu instid0(VALU_DEP_3) | instskip(NEXT) | instid1(VALU_DEP_3)
	v_lshlrev_b32_e32 v5, 16, v5
	v_or_b32_e32 v7, v6, v7
	v_cmp_lt_u16_e64 s0, v17, v6
	s_delay_alu instid0(VALU_DEP_3) | instskip(NEXT) | instid1(VALU_DEP_2)
	v_and_or_b32 v5, 0xffff, v1, v5
	v_cndmask_b32_e64 v3, v3, v7, s0
	v_cndmask_b32_e64 v2, v2, v4, s0
	s_delay_alu instid0(VALU_DEP_3)
	v_cndmask_b32_e32 v1, v1, v5, vcc_lo
	s_clause 0x1
	global_store_b16 v0, v3, s[4:5] offset:8
	global_store_b64 v0, v[1:2], s[4:5]
	s_nop 0
	s_sendmsg sendmsg(MSG_DEALLOC_VGPRS)
	s_endpgm
	.section	.rodata,"a",@progbits
	.p2align	6, 0x0
	.amdhsa_kernel _Z9sort_keysILj256ELj10EhN10test_utils4lessEEvPT1_T2_
		.amdhsa_group_segment_fixed_size 0
		.amdhsa_private_segment_fixed_size 0
		.amdhsa_kernarg_size 12
		.amdhsa_user_sgpr_count 15
		.amdhsa_user_sgpr_dispatch_ptr 0
		.amdhsa_user_sgpr_queue_ptr 0
		.amdhsa_user_sgpr_kernarg_segment_ptr 1
		.amdhsa_user_sgpr_dispatch_id 0
		.amdhsa_user_sgpr_private_segment_size 0
		.amdhsa_wavefront_size32 1
		.amdhsa_uses_dynamic_stack 0
		.amdhsa_enable_private_segment 0
		.amdhsa_system_sgpr_workgroup_id_x 1
		.amdhsa_system_sgpr_workgroup_id_y 0
		.amdhsa_system_sgpr_workgroup_id_z 0
		.amdhsa_system_sgpr_workgroup_info 0
		.amdhsa_system_vgpr_workitem_id 0
		.amdhsa_next_free_vgpr 26
		.amdhsa_next_free_sgpr 16
		.amdhsa_reserve_vcc 1
		.amdhsa_float_round_mode_32 0
		.amdhsa_float_round_mode_16_64 0
		.amdhsa_float_denorm_mode_32 3
		.amdhsa_float_denorm_mode_16_64 3
		.amdhsa_dx10_clamp 1
		.amdhsa_ieee_mode 1
		.amdhsa_fp16_overflow 0
		.amdhsa_workgroup_processor_mode 1
		.amdhsa_memory_ordered 1
		.amdhsa_forward_progress 0
		.amdhsa_shared_vgpr_count 0
		.amdhsa_exception_fp_ieee_invalid_op 0
		.amdhsa_exception_fp_denorm_src 0
		.amdhsa_exception_fp_ieee_div_zero 0
		.amdhsa_exception_fp_ieee_overflow 0
		.amdhsa_exception_fp_ieee_underflow 0
		.amdhsa_exception_fp_ieee_inexact 0
		.amdhsa_exception_int_div_zero 0
	.end_amdhsa_kernel
	.section	.text._Z9sort_keysILj256ELj10EhN10test_utils4lessEEvPT1_T2_,"axG",@progbits,_Z9sort_keysILj256ELj10EhN10test_utils4lessEEvPT1_T2_,comdat
.Lfunc_end4:
	.size	_Z9sort_keysILj256ELj10EhN10test_utils4lessEEvPT1_T2_, .Lfunc_end4-_Z9sort_keysILj256ELj10EhN10test_utils4lessEEvPT1_T2_
                                        ; -- End function
	.section	.AMDGPU.csdata,"",@progbits
; Kernel info:
; codeLenInByte = 3672
; NumSgprs: 18
; NumVgprs: 26
; ScratchSize: 0
; MemoryBound: 0
; FloatMode: 240
; IeeeMode: 1
; LDSByteSize: 0 bytes/workgroup (compile time only)
; SGPRBlocks: 2
; VGPRBlocks: 3
; NumSGPRsForWavesPerEU: 18
; NumVGPRsForWavesPerEU: 26
; Occupancy: 16
; WaveLimiterHint : 0
; COMPUTE_PGM_RSRC2:SCRATCH_EN: 0
; COMPUTE_PGM_RSRC2:USER_SGPR: 15
; COMPUTE_PGM_RSRC2:TRAP_HANDLER: 0
; COMPUTE_PGM_RSRC2:TGID_X_EN: 1
; COMPUTE_PGM_RSRC2:TGID_Y_EN: 0
; COMPUTE_PGM_RSRC2:TGID_Z_EN: 0
; COMPUTE_PGM_RSRC2:TIDIG_COMP_CNT: 0
	.section	.text._Z9sort_keysILj256ELj9EyN10test_utils4lessEEvPT1_T2_,"axG",@progbits,_Z9sort_keysILj256ELj9EyN10test_utils4lessEEvPT1_T2_,comdat
	.protected	_Z9sort_keysILj256ELj9EyN10test_utils4lessEEvPT1_T2_ ; -- Begin function _Z9sort_keysILj256ELj9EyN10test_utils4lessEEvPT1_T2_
	.globl	_Z9sort_keysILj256ELj9EyN10test_utils4lessEEvPT1_T2_
	.p2align	8
	.type	_Z9sort_keysILj256ELj9EyN10test_utils4lessEEvPT1_T2_,@function
_Z9sort_keysILj256ELj9EyN10test_utils4lessEEvPT1_T2_: ; @_Z9sort_keysILj256ELj9EyN10test_utils4lessEEvPT1_T2_
; %bb.0:
	s_load_b64 s[0:1], s[0:1], 0x0
	v_mul_u32_u24_e32 v0, 9, v0
	s_mov_b32 s3, 0
	s_mul_i32 s2, s15, 0x900
	s_delay_alu instid0(SALU_CYCLE_1) | instskip(NEXT) | instid1(VALU_DEP_1)
	s_lshl_b64 s[2:3], s[2:3], 3
	v_lshlrev_b32_e32 v0, 3, v0
	s_waitcnt lgkmcnt(0)
	s_add_u32 s8, s0, s2
	s_addc_u32 s9, s1, s3
	s_clause 0x4
	global_load_b128 v[1:4], v0, s[8:9]
	global_load_b128 v[5:8], v0, s[8:9] offset:16
	global_load_b128 v[9:12], v0, s[8:9] offset:32
	;; [unrolled: 1-line block ×3, first 2 shown]
	global_load_b64 v[17:18], v0, s[8:9] offset:64
	s_waitcnt vmcnt(4)
	v_cmp_lt_u64_e32 vcc_lo, v[3:4], v[1:2]
	v_cmp_gt_u64_e64 s0, v[3:4], v[1:2]
	s_waitcnt vmcnt(3)
	v_cmp_lt_u64_e64 s1, v[7:8], v[5:6]
	v_cmp_gt_u64_e64 s2, v[7:8], v[5:6]
	s_waitcnt vmcnt(2)
	v_cmp_gt_u64_e64 s4, v[11:12], v[9:10]
	s_waitcnt vmcnt(1)
	v_cmp_lt_u64_e64 s5, v[15:16], v[13:14]
	v_cndmask_b32_e32 v29, v4, v2, vcc_lo
	v_cmp_gt_u64_e64 s6, v[15:16], v[13:14]
	v_cmp_lt_u64_e64 s3, v[11:12], v[9:10]
	v_cndmask_b32_e64 v20, v2, v4, s0
	v_cndmask_b32_e64 v30, v8, v6, s1
	;; [unrolled: 1-line block ×5, first 2 shown]
	v_dual_cndmask_b32 v33, v3, v1 :: v_dual_cndmask_b32 v28, v2, v4
	v_cndmask_b32_e64 v19, v1, v3, s0
	v_cndmask_b32_e32 v27, v1, v3, vcc_lo
	v_cndmask_b32_e64 v34, v7, v5, s1
	v_cndmask_b32_e64 v21, v5, v7, s2
	;; [unrolled: 1-line block ×12, first 2 shown]
	v_cmp_gt_u64_e64 s4, v[5:6], v[23:24]
	s_waitcnt vmcnt(0)
	v_cmp_lt_u64_e64 s5, v[17:18], v[25:26]
	v_cndmask_b32_e64 v31, v12, v10, s3
	v_cndmask_b32_e64 v35, v11, v9, s3
	v_cmp_lt_u64_e32 vcc_lo, v[1:2], v[19:20]
	v_cmp_gt_u64_e64 s0, v[1:2], v[19:20]
	v_cmp_lt_u64_e64 s1, v[3:4], v[21:22]
	v_cmp_gt_u64_e64 s2, v[3:4], v[21:22]
	v_cmp_lt_u64_e64 s3, v[5:6], v[23:24]
	v_cmp_gt_u64_e64 s6, v[17:18], v[25:26]
	v_cndmask_b32_e32 v42, v19, v1, vcc_lo
	v_cndmask_b32_e64 v12, v24, v6, s4
	v_cndmask_b32_e64 v11, v23, v5, s4
	v_cndmask_b32_e64 v16, v26, v18, s5
	v_cndmask_b32_e64 v15, v25, v17, s5
	v_cndmask_b32_e64 v8, v20, v2, s0
	v_cndmask_b32_e64 v38, v3, v21, s1
	v_cndmask_b32_e64 v39, v5, v23, s3
	v_cndmask_b32_e64 v40, v17, v25, s5
	v_cndmask_b32_e64 v7, v19, v1, s0
	v_cndmask_b32_e64 v34, v34, v3, s1
	v_cndmask_b32_e64 v9, v21, v3, s2
	v_cndmask_b32_e64 v3, v21, v3, s1
	v_cndmask_b32_e64 v35, v35, v5, s3
	v_cndmask_b32_e64 v5, v23, v5, s3
	v_cndmask_b32_e64 v23, v18, v26, s5
	v_cndmask_b32_e64 v21, v32, v18, s5
	v_cndmask_b32_e64 v13, v25, v17, s6
	v_cndmask_b32_e32 v43, v20, v2, vcc_lo
	v_cndmask_b32_e32 v37, v1, v19, vcc_lo
	v_cndmask_b32_e32 v41, v2, v20, vcc_lo
	v_cndmask_b32_e64 v19, v30, v4, s1
	v_cndmask_b32_e64 v30, v6, v24, s3
	;; [unrolled: 1-line block ×5, first 2 shown]
	v_cmp_gt_u64_e64 s5, v[15:16], v[11:12]
	v_cndmask_b32_e64 v10, v22, v4, s2
	v_cndmask_b32_e64 v44, v4, v22, s1
	;; [unrolled: 1-line block ×3, first 2 shown]
	v_cndmask_b32_e32 v29, v29, v2, vcc_lo
	v_cmp_lt_u64_e64 s4, v[15:16], v[11:12]
	v_cmp_lt_u64_e64 s2, v[5:6], v[9:10]
	v_cmp_gt_u64_e64 s3, v[5:6], v[9:10]
	v_cmp_lt_u64_e64 s0, v[3:4], v[7:8]
	v_cmp_gt_u64_e64 s1, v[3:4], v[7:8]
	v_cndmask_b32_e64 v36, v11, v15, s5
	v_cndmask_b32_e32 v33, v33, v1, vcc_lo
	v_cmp_lt_u64_e32 vcc_lo, v[1:2], v[27:28]
	v_cndmask_b32_e64 v14, v26, v18, s6
	v_cndmask_b32_e64 v31, v19, v8, s0
	;; [unrolled: 1-line block ×6, first 2 shown]
	v_dual_cndmask_b32 v20, v28, v43 :: v_dual_cndmask_b32 v19, v27, v42
	v_dual_cndmask_b32 v22, v43, v28 :: v_dual_cndmask_b32 v21, v42, v27
	v_cndmask_b32_e64 v26, v37, v3, s0
	v_cndmask_b32_e64 v1, v7, v3, s1
	;; [unrolled: 1-line block ×6, first 2 shown]
	v_cndmask_b32_e32 v29, v29, v28, vcc_lo
	v_cndmask_b32_e32 v33, v33, v27, vcc_lo
	v_cndmask_b32_e64 v27, v34, v7, s0
	v_cndmask_b32_e64 v28, v41, v4, s0
	v_cndmask_b32_e64 v4, v8, v4, s0
	v_cndmask_b32_e64 v8, v12, v16, s4
	v_cndmask_b32_e64 v7, v11, v15, s4
	v_cndmask_b32_e64 v34, v35, v9, s2
	v_cndmask_b32_e64 v5, v9, v5, s2
	v_cndmask_b32_e64 v9, v24, v11, s4
	v_cndmask_b32_e64 v30, v30, v16, s4
	v_cndmask_b32_e64 v24, v39, v15, s4
	v_cmp_gt_u64_e32 vcc_lo, v[11:12], v[13:14]
	v_cmp_lt_u64_e64 s0, v[3:4], v[21:22]
	v_cmp_gt_u64_e64 s1, v[3:4], v[21:22]
	v_cmp_lt_u64_e64 s4, v[7:8], v[17:18]
	v_cndmask_b32_e64 v35, v44, v6, s2
	v_cndmask_b32_e64 v6, v10, v6, s2
	v_cndmask_b32_e32 v41, v23, v38, vcc_lo
	v_cndmask_b32_e64 v16, v26, v21, s0
	v_cndmask_b32_e64 v10, v22, v4, s1
	;; [unrolled: 1-line block ×3, first 2 shown]
	v_cmp_lt_u64_e64 s2, v[5:6], v[1:2]
	v_cmp_gt_u64_e64 s3, v[5:6], v[1:2]
	v_cndmask_b32_e32 v40, v40, v36, vcc_lo
	v_cndmask_b32_e32 v42, v9, v13, vcc_lo
	v_cndmask_b32_e32 v43, v25, v14, vcc_lo
	v_dual_cndmask_b32 v24, v14, v38 :: v_dual_cndmask_b32 v23, v13, v36
	v_dual_cndmask_b32 v26, v38, v14 :: v_dual_cndmask_b32 v25, v36, v13
	v_cndmask_b32_e64 v36, v28, v22, s0
	v_cndmask_b32_e64 v28, v33, v3, s0
	;; [unrolled: 1-line block ×8, first 2 shown]
	v_cmp_gt_u64_e64 s5, v[7:8], v[17:18]
	v_cndmask_b32_e64 v22, v35, v2, s2
	v_cmp_lt_u64_e32 vcc_lo, v[3:4], v[19:20]
	v_cndmask_b32_e64 v29, v27, v5, s2
	v_cndmask_b32_e64 v21, v31, v6, s2
	;; [unrolled: 1-line block ×8, first 2 shown]
	v_cndmask_b32_e32 v32, v13, v20, vcc_lo
	v_cmp_gt_u64_e64 s0, v[3:4], v[19:20]
	v_cmp_lt_u64_e64 s1, v[1:2], v[9:10]
	v_cmp_gt_u64_e64 s2, v[1:2], v[9:10]
	v_cmp_lt_u64_e64 s3, v[5:6], v[11:12]
	v_cndmask_b32_e64 v15, v18, v8, s5
	v_cndmask_b32_e64 v14, v17, v7, s5
	;; [unrolled: 1-line block ×7, first 2 shown]
	v_cmp_gt_u64_e64 s4, v[5:6], v[11:12]
	v_cmp_lt_u64_e64 s5, v[25:26], v[14:15]
	v_cmp_gt_u64_e64 s6, v[25:26], v[14:15]
	v_cndmask_b32_e32 v38, v28, v19, vcc_lo
	v_cndmask_b32_e32 v27, v19, v3, vcc_lo
	v_cndmask_b32_e64 v7, v19, v3, s0
	v_cndmask_b32_e64 v19, v29, v9, s1
	;; [unrolled: 1-line block ×7, first 2 shown]
	v_cndmask_b32_e32 v28, v20, v4, vcc_lo
	v_cndmask_b32_e64 v33, v21, v10, s1
	v_cndmask_b32_e64 v21, v12, v6, s4
	;; [unrolled: 1-line block ×3, first 2 shown]
	v_cmp_lt_u64_e32 vcc_lo, v[1:2], v[7:8]
	v_cndmask_b32_e64 v36, v22, v6, s3
	v_cndmask_b32_e64 v9, v37, v5, s3
	;; [unrolled: 1-line block ×11, first 2 shown]
	v_cndmask_b32_e32 v42, v8, v2, vcc_lo
	v_cndmask_b32_e64 v30, v30, v26, s5
	v_cndmask_b32_e64 v22, v39, v25, s5
	v_cmp_gt_u64_e64 s0, v[1:2], v[7:8]
	v_cmp_lt_u64_e64 s1, v[3:4], v[16:17]
	v_cmp_gt_u64_e64 s2, v[3:4], v[16:17]
	v_cmp_lt_u64_e64 s3, v[5:6], v[20:21]
	v_cmp_gt_u64_e64 s4, v[5:6], v[20:21]
	v_cndmask_b32_e32 v32, v32, v2, vcc_lo
	v_cmp_lt_u64_e64 s5, v[23:24], v[12:13]
	v_cndmask_b32_e32 v25, v18, v7, vcc_lo
	v_cndmask_b32_e64 v10, v8, v2, s0
	v_cndmask_b32_e64 v26, v9, v16, s1
	;; [unrolled: 1-line block ×5, first 2 shown]
	v_cndmask_b32_e32 v29, v29, v8, vcc_lo
	v_cndmask_b32_e64 v9, v7, v1, s0
	v_cndmask_b32_e32 v40, v7, v1, vcc_lo
	v_cndmask_b32_e64 v36, v36, v17, s1
	v_cndmask_b32_e64 v43, v19, v3, s1
	v_cndmask_b32_e64 v19, v33, v4, s1
	v_cndmask_b32_e64 v14, v16, v3, s2
	v_cndmask_b32_e64 v4, v17, v4, s1
	v_cndmask_b32_e64 v3, v16, v3, s1
	v_cndmask_b32_e64 v16, v30, v21, s3
	v_cndmask_b32_e64 v30, v31, v5, s3
	v_cndmask_b32_e64 v31, v34, v6, s3
	v_cndmask_b32_e64 v17, v20, v5, s4
	v_cndmask_b32_e64 v6, v21, v6, s3
	v_cndmask_b32_e64 v5, v20, v5, s3
	v_cndmask_b32_e64 v8, v13, v24, s5
	v_cndmask_b32_e64 v7, v12, v23, s5
	v_cndmask_b32_e64 v37, v22, v20, s3
	v_cmp_gt_u64_e64 s6, v[23:24], v[12:13]
	v_cndmask_b32_e32 v38, v38, v1, vcc_lo
	v_cmp_lt_u64_e32 vcc_lo, v[1:2], v[27:28]
	v_cmp_lt_u64_e64 s0, v[3:4], v[9:10]
	v_cmp_gt_u64_e64 s1, v[3:4], v[9:10]
	v_cmp_lt_u64_e64 s2, v[5:6], v[14:15]
	v_cmp_gt_u64_e64 s3, v[5:6], v[14:15]
	v_cmp_lt_u64_e64 s4, v[7:8], v[17:18]
	v_cndmask_b32_e64 v20, v35, v24, s5
	v_cndmask_b32_e64 v33, v41, v13, s5
	v_cndmask_b32_e64 v34, v11, v23, s5
	v_cmp_gt_u64_e64 s5, v[7:8], v[17:18]
	v_cndmask_b32_e64 v22, v13, v24, s6
	v_cndmask_b32_e64 v21, v12, v23, s6
	;; [unrolled: 1-line block ×6, first 2 shown]
	v_cndmask_b32_e32 v20, v28, v42, vcc_lo
	v_dual_cndmask_b32 v38, v38, v27 :: v_dual_cndmask_b32 v19, v27, v40
	v_cndmask_b32_e32 v12, v40, v27, vcc_lo
	v_cndmask_b32_e64 v27, v29, v4, s0
	v_cndmask_b32_e64 v1, v9, v3, s1
	;; [unrolled: 1-line block ×8, first 2 shown]
	v_cndmask_b32_e32 v32, v32, v28, vcc_lo
	v_cndmask_b32_e64 v31, v31, v15, s2
	v_cndmask_b32_e64 v40, v43, v9, s0
	;; [unrolled: 1-line block ×6, first 2 shown]
	v_cndmask_b32_e32 v13, v42, v28, vcc_lo
	v_cmp_gt_u64_e32 vcc_lo, v[17:18], v[21:22]
	v_cmp_lt_u64_e64 s2, v[5:6], v[1:2]
	v_cndmask_b32_e64 v44, v17, v7, s5
	v_cndmask_b32_e64 v16, v16, v8, s4
	;; [unrolled: 1-line block ×7, first 2 shown]
	v_cndmask_b32_e32 v24, v33, v26, vcc_lo
	v_cmp_lt_u64_e64 s0, v[3:4], v[12:13]
	v_cmp_gt_u64_e64 s1, v[3:4], v[12:13]
	v_cmp_gt_u64_e64 s3, v[5:6], v[1:2]
	v_cmp_lt_u64_e64 s4, v[7:8], v[10:11]
	v_cmp_gt_u64_e64 s5, v[7:8], v[10:11]
	v_cndmask_b32_e32 v33, v14, v21, vcc_lo
	v_cndmask_b32_e32 v26, v26, v22, vcc_lo
	v_cndmask_b32_e64 v15, v13, v4, s1
	v_cndmask_b32_e64 v18, v2, v6, s3
	;; [unrolled: 1-line block ×3, first 2 shown]
	v_cndmask_b32_e32 v25, v44, v21, vcc_lo
	v_cndmask_b32_e64 v21, v27, v13, s0
	v_cndmask_b32_e64 v38, v38, v3, s0
	;; [unrolled: 1-line block ×15, first 2 shown]
	v_cndmask_b32_e32 v41, v41, v22, vcc_lo
	v_cndmask_b32_e64 v22, v10, v7, s5
	v_cndmask_b32_e64 v32, v32, v4, s0
	v_cmp_lt_u64_e64 s0, v[27:28], v[19:20]
	v_cmp_lt_u64_e64 s1, v[5:6], v[14:15]
	;; [unrolled: 1-line block ×3, first 2 shown]
	v_cndmask_b32_e64 v1, v31, v8, s4
	v_cndmask_b32_e64 v9, v9, v7, s4
	v_cmp_lt_u64_e64 s3, v[25:26], v[22:23]
	v_cndmask_b32_e64 v35, v16, v11, s4
	v_cndmask_b32_e64 v4, v32, v20, s0
	;; [unrolled: 1-line block ×17, first 2 shown]
	v_cndmask_b32_e32 v23, v39, v44, vcc_lo
	s_clause 0x4
	global_store_b128 v0, v[1:4], s[8:9]
	global_store_b128 v0, v[5:8], s[8:9] offset:16
	global_store_b128 v0, v[9:12], s[8:9] offset:32
	global_store_b128 v0, v[13:16], s[8:9] offset:48
	global_store_b64 v0, v[23:24], s[8:9] offset:64
	s_nop 0
	s_sendmsg sendmsg(MSG_DEALLOC_VGPRS)
	s_endpgm
	.section	.rodata,"a",@progbits
	.p2align	6, 0x0
	.amdhsa_kernel _Z9sort_keysILj256ELj9EyN10test_utils4lessEEvPT1_T2_
		.amdhsa_group_segment_fixed_size 0
		.amdhsa_private_segment_fixed_size 0
		.amdhsa_kernarg_size 12
		.amdhsa_user_sgpr_count 15
		.amdhsa_user_sgpr_dispatch_ptr 0
		.amdhsa_user_sgpr_queue_ptr 0
		.amdhsa_user_sgpr_kernarg_segment_ptr 1
		.amdhsa_user_sgpr_dispatch_id 0
		.amdhsa_user_sgpr_private_segment_size 0
		.amdhsa_wavefront_size32 1
		.amdhsa_uses_dynamic_stack 0
		.amdhsa_enable_private_segment 0
		.amdhsa_system_sgpr_workgroup_id_x 1
		.amdhsa_system_sgpr_workgroup_id_y 0
		.amdhsa_system_sgpr_workgroup_id_z 0
		.amdhsa_system_sgpr_workgroup_info 0
		.amdhsa_system_vgpr_workitem_id 0
		.amdhsa_next_free_vgpr 45
		.amdhsa_next_free_sgpr 16
		.amdhsa_reserve_vcc 1
		.amdhsa_float_round_mode_32 0
		.amdhsa_float_round_mode_16_64 0
		.amdhsa_float_denorm_mode_32 3
		.amdhsa_float_denorm_mode_16_64 3
		.amdhsa_dx10_clamp 1
		.amdhsa_ieee_mode 1
		.amdhsa_fp16_overflow 0
		.amdhsa_workgroup_processor_mode 1
		.amdhsa_memory_ordered 1
		.amdhsa_forward_progress 0
		.amdhsa_shared_vgpr_count 0
		.amdhsa_exception_fp_ieee_invalid_op 0
		.amdhsa_exception_fp_denorm_src 0
		.amdhsa_exception_fp_ieee_div_zero 0
		.amdhsa_exception_fp_ieee_overflow 0
		.amdhsa_exception_fp_ieee_underflow 0
		.amdhsa_exception_fp_ieee_inexact 0
		.amdhsa_exception_int_div_zero 0
	.end_amdhsa_kernel
	.section	.text._Z9sort_keysILj256ELj9EyN10test_utils4lessEEvPT1_T2_,"axG",@progbits,_Z9sort_keysILj256ELj9EyN10test_utils4lessEEvPT1_T2_,comdat
.Lfunc_end5:
	.size	_Z9sort_keysILj256ELj9EyN10test_utils4lessEEvPT1_T2_, .Lfunc_end5-_Z9sort_keysILj256ELj9EyN10test_utils4lessEEvPT1_T2_
                                        ; -- End function
	.section	.AMDGPU.csdata,"",@progbits
; Kernel info:
; codeLenInByte = 2512
; NumSgprs: 18
; NumVgprs: 45
; ScratchSize: 0
; MemoryBound: 0
; FloatMode: 240
; IeeeMode: 1
; LDSByteSize: 0 bytes/workgroup (compile time only)
; SGPRBlocks: 2
; VGPRBlocks: 5
; NumSGPRsForWavesPerEU: 18
; NumVGPRsForWavesPerEU: 45
; Occupancy: 16
; WaveLimiterHint : 0
; COMPUTE_PGM_RSRC2:SCRATCH_EN: 0
; COMPUTE_PGM_RSRC2:USER_SGPR: 15
; COMPUTE_PGM_RSRC2:TRAP_HANDLER: 0
; COMPUTE_PGM_RSRC2:TGID_X_EN: 1
; COMPUTE_PGM_RSRC2:TGID_Y_EN: 0
; COMPUTE_PGM_RSRC2:TGID_Z_EN: 0
; COMPUTE_PGM_RSRC2:TIDIG_COMP_CNT: 0
	.section	.text._Z9sort_keysILj256ELj8EtN10test_utils4lessEEvPT1_T2_,"axG",@progbits,_Z9sort_keysILj256ELj8EtN10test_utils4lessEEvPT1_T2_,comdat
	.protected	_Z9sort_keysILj256ELj8EtN10test_utils4lessEEvPT1_T2_ ; -- Begin function _Z9sort_keysILj256ELj8EtN10test_utils4lessEEvPT1_T2_
	.globl	_Z9sort_keysILj256ELj8EtN10test_utils4lessEEvPT1_T2_
	.p2align	8
	.type	_Z9sort_keysILj256ELj8EtN10test_utils4lessEEvPT1_T2_,@function
_Z9sort_keysILj256ELj8EtN10test_utils4lessEEvPT1_T2_: ; @_Z9sort_keysILj256ELj8EtN10test_utils4lessEEvPT1_T2_
; %bb.0:
	s_load_b64 s[0:1], s[0:1], 0x0
	s_mov_b32 s3, 0
	s_lshl_b32 s2, s15, 11
	v_lshlrev_b32_e32 v4, 4, v0
	s_lshl_b64 s[2:3], s[2:3], 1
	s_waitcnt lgkmcnt(0)
	s_add_u32 s2, s0, s2
	s_addc_u32 s3, s1, s3
	global_load_b128 v[0:3], v4, s[2:3]
	s_waitcnt vmcnt(0)
	v_lshrrev_b32_e32 v5, 16, v0
	v_alignbit_b32 v6, v0, v0, 16
	v_lshrrev_b32_e32 v7, 16, v1
	v_alignbit_b32 v8, v1, v1, 16
	v_lshrrev_b32_e32 v9, 16, v2
	v_cmp_lt_u16_e32 vcc_lo, v5, v0
	v_alignbit_b32 v10, v2, v2, 16
	v_lshrrev_b32_e32 v11, 16, v3
	v_min_u16 v13, v5, v0
	v_alignbit_b32 v12, v3, v3, 16
	v_cndmask_b32_e32 v6, v0, v6, vcc_lo
	v_cmp_lt_u16_e32 vcc_lo, v7, v1
	v_max_u16 v0, v5, v0
	v_cndmask_b32_e32 v5, v1, v8, vcc_lo
	v_cmp_lt_u16_e32 vcc_lo, v9, v2
	v_max_u16 v8, v7, v1
	v_min_u16 v1, v7, v1
	s_delay_alu instid0(VALU_DEP_4)
	v_bfi_b32 v14, 0xffff, v0, v5
	v_cndmask_b32_e32 v7, v2, v10, vcc_lo
	v_cmp_lt_u16_e32 vcc_lo, v11, v3
	v_max_u16 v10, v9, v2
	v_min_u16 v2, v9, v2
	v_min_u16 v16, v1, v0
	v_max_u16 v15, v1, v0
	v_cndmask_b32_e32 v9, v3, v12, vcc_lo
	v_max_u16 v12, v11, v3
	v_min_u16 v3, v11, v3
	v_perm_b32 v11, v1, v6, 0x5040100
	v_cmp_lt_u16_e32 vcc_lo, v1, v0
	v_bfi_b32 v17, 0xffff, v8, v7
	v_min_u16 v19, v2, v8
	v_cmp_lt_u16_e64 s0, v2, v8
	v_max_u16 v18, v2, v8
	v_cndmask_b32_e32 v6, v6, v11, vcc_lo
	v_perm_b32 v11, v13, v16, 0x5040100
	v_cndmask_b32_e32 v5, v5, v14, vcc_lo
	v_cmp_lt_u16_e32 vcc_lo, v1, v13
	v_perm_b32 v14, v15, v19, 0x5040100
	v_cndmask_b32_e64 v7, v7, v17, s0
	v_bfi_b32 v0, 0xffff, v10, v9
	v_max_u16 v20, v3, v10
	v_cndmask_b32_e32 v6, v6, v11, vcc_lo
	v_perm_b32 v27, v2, v5, 0x5040100
	v_cndmask_b32_e32 v2, v13, v16, vcc_lo
	v_min_u16 v23, v19, v15
	v_perm_b32 v28, v3, v7, 0x5040100
	v_perm_b32 v1, v20, v12, 0x5040100
	v_cndmask_b32_e64 v5, v5, v27, s0
	v_cndmask_b32_e32 v8, v16, v13, vcc_lo
	v_cmp_lt_u16_e32 vcc_lo, v19, v15
	v_cmp_lt_u16_e64 s0, v3, v10
	v_perm_b32 v16, v23, v6, 0x5040100
	v_min_u16 v21, v3, v10
	v_max_u16 v22, v19, v15
	v_cndmask_b32_e32 v5, v5, v14, vcc_lo
	v_max_u16 v17, v23, v8
	v_min_u16 v27, v23, v8
	v_cmp_lt_u16_e32 vcc_lo, v23, v8
	v_cndmask_b32_e64 v7, v7, v28, s0
	v_cndmask_b32_e64 v0, v9, v0, s0
	v_cmp_gt_u16_e64 s0, v10, v12
	v_bfi_b32 v8, 0xffff, v8, v5
	v_perm_b32 v14, v2, v27, 0x5040100
	v_cmp_lt_u16_e64 s1, v27, v2
	v_perm_b32 v24, v18, v21, 0x5040100
	v_cndmask_b32_e64 v0, v0, v1, s0
	v_cndmask_b32_e32 v1, v5, v8, vcc_lo
	v_cndmask_b32_e32 v6, v6, v16, vcc_lo
	v_min_u16 v15, v27, v2
	v_max_u16 v16, v27, v2
	v_min_u16 v26, v21, v18
	v_max_u16 v25, v21, v18
	v_cndmask_b32_e64 v2, v6, v14, s1
	v_cmp_lt_u16_e64 s1, v21, v18
	v_cndmask_b32_e64 v8, v20, v12, s0
	v_min_u16 v13, v26, v22
	v_perm_b32 v14, v26, v1, 0x5040100
	v_cmp_lt_u16_e32 vcc_lo, v26, v22
	v_cndmask_b32_e64 v7, v7, v24, s1
	v_bfi_b32 v21, 0xffff, v25, v0
	v_perm_b32 v3, v17, v13, 0x5040100
	v_min_u16 v23, v13, v17
	v_cndmask_b32_e32 v1, v1, v14, vcc_lo
	v_bfi_b32 v18, 0xffff, v22, v7
	v_cndmask_b32_e64 v5, v12, v20, s0
	v_max_u16 v11, v26, v22
	v_min_u16 v9, v23, v16
	v_perm_b32 v10, v23, v2, 0x5040100
	v_cndmask_b32_e32 v7, v7, v18, vcc_lo
	v_cmp_lt_u16_e32 vcc_lo, v13, v17
	v_min_u16 v20, v8, v25
	v_perm_b32 v12, v15, v9, 0x5040100
	v_max_u16 v22, v8, v25
	v_perm_b32 v29, v8, v7, 0x5040100
	v_cndmask_b32_e32 v1, v1, v3, vcc_lo
	v_cmp_lt_u16_e32 vcc_lo, v8, v25
	v_perm_b32 v14, v11, v20, 0x5040100
	v_perm_b32 v26, v22, v5, 0x5040100
	v_cmp_lt_u16_e64 s0, v20, v11
	v_max_u16 v19, v13, v17
	v_cndmask_b32_e32 v7, v7, v29, vcc_lo
	v_cndmask_b32_e32 v0, v0, v21, vcc_lo
	v_cmp_lt_u16_e32 vcc_lo, v23, v16
	v_min_u16 v24, v20, v11
	v_max_u16 v6, v23, v16
	v_max_u16 v18, v20, v11
	v_min_u16 v28, v5, v22
	v_cndmask_b32_e32 v2, v2, v10, vcc_lo
	v_bfi_b32 v25, 0xffff, v16, v1
	v_min_u16 v13, v24, v19
	v_max_u16 v27, v5, v22
	v_max_u16 v8, v28, v18
	;; [unrolled: 1-line block ×3, first 2 shown]
	v_cndmask_b32_e32 v1, v1, v25, vcc_lo
	v_cmp_lt_u16_e32 vcc_lo, v23, v15
	v_perm_b32 v21, v6, v13, 0x5040100
	v_min_u16 v17, v28, v18
	v_max_u16 v11, v13, v6
	v_perm_b32 v10, v24, v1, 0x5040100
	v_cndmask_b32_e32 v2, v2, v12, vcc_lo
	v_cndmask_b32_e64 v7, v7, v14, s0
	v_cmp_lt_u16_e64 s0, v24, v19
	v_min_u16 v16, v13, v6
	v_cmp_lt_u16_e64 s1, v17, v3
	s_delay_alu instid0(VALU_DEP_4) | instskip(NEXT) | instid1(VALU_DEP_4)
	v_bfi_b32 v14, 0xffff, v19, v7
	v_cndmask_b32_e64 v1, v1, v10, s0
	v_min_u16 v10, v17, v3
	s_delay_alu instid0(VALU_DEP_3) | instskip(SKIP_2) | instid1(VALU_DEP_3)
	v_cndmask_b32_e64 v7, v7, v14, s0
	v_cndmask_b32_e32 v9, v9, v15, vcc_lo
	v_cmp_lt_u16_e32 vcc_lo, v13, v6
	v_perm_b32 v6, v28, v7, 0x5040100
	v_cndmask_b32_e32 v1, v1, v21, vcc_lo
	v_cmp_lt_u16_e32 vcc_lo, v5, v22
	v_perm_b32 v5, v3, v17, 0x5040100
	v_max_u16 v3, v17, v3
	v_cndmask_b32_e32 v0, v0, v26, vcc_lo
	v_cmp_lt_u16_e32 vcc_lo, v28, v18
	s_delay_alu instid0(VALU_DEP_2) | instskip(SKIP_3) | instid1(VALU_DEP_4)
	v_bfi_b32 v13, 0xffff, v18, v0
	v_cndmask_b32_e32 v6, v7, v6, vcc_lo
	v_perm_b32 v7, v8, v27, 0x5040100
	v_cmp_lt_u16_e64 s0, v16, v9
	v_cndmask_b32_e32 v0, v0, v13, vcc_lo
	v_cmp_gt_u16_e32 vcc_lo, v18, v27
	v_cndmask_b32_e64 v5, v6, v5, s1
	v_cmp_lt_u16_e64 s1, v10, v11
	s_delay_alu instid0(VALU_DEP_4) | instskip(SKIP_3) | instid1(VALU_DEP_3)
	v_cndmask_b32_e32 v7, v0, v7, vcc_lo
	v_cndmask_b32_e32 v0, v8, v27, vcc_lo
	v_bfi_b32 v12, 0xffff, v9, v1
	v_bfi_b32 v9, 0xffff, v11, v5
	v_cmp_lt_u16_e32 vcc_lo, v0, v3
	s_delay_alu instid0(VALU_DEP_3) | instskip(NEXT) | instid1(VALU_DEP_3)
	v_cndmask_b32_e64 v1, v1, v12, s0
	v_cndmask_b32_e64 v5, v5, v9, s1
	s_delay_alu instid0(VALU_DEP_2) | instskip(NEXT) | instid1(VALU_DEP_2)
	v_perm_b32 v6, v10, v1, 0x5040100
	v_perm_b32 v9, v0, v5, 0x5040100
	s_delay_alu instid0(VALU_DEP_2) | instskip(SKIP_1) | instid1(VALU_DEP_1)
	v_cndmask_b32_e64 v1, v1, v6, s1
	v_perm_b32 v6, v16, v2, 0x5040100
	v_cndmask_b32_e64 v0, v2, v6, s0
	s_delay_alu instid0(VALU_DEP_4) | instskip(SKIP_1) | instid1(VALU_DEP_1)
	v_cndmask_b32_e32 v2, v5, v9, vcc_lo
	v_bfi_b32 v8, 0xffff, v3, v7
	v_cndmask_b32_e32 v3, v7, v8, vcc_lo
	global_store_b128 v4, v[0:3], s[2:3]
	s_nop 0
	s_sendmsg sendmsg(MSG_DEALLOC_VGPRS)
	s_endpgm
	.section	.rodata,"a",@progbits
	.p2align	6, 0x0
	.amdhsa_kernel _Z9sort_keysILj256ELj8EtN10test_utils4lessEEvPT1_T2_
		.amdhsa_group_segment_fixed_size 0
		.amdhsa_private_segment_fixed_size 0
		.amdhsa_kernarg_size 12
		.amdhsa_user_sgpr_count 15
		.amdhsa_user_sgpr_dispatch_ptr 0
		.amdhsa_user_sgpr_queue_ptr 0
		.amdhsa_user_sgpr_kernarg_segment_ptr 1
		.amdhsa_user_sgpr_dispatch_id 0
		.amdhsa_user_sgpr_private_segment_size 0
		.amdhsa_wavefront_size32 1
		.amdhsa_uses_dynamic_stack 0
		.amdhsa_enable_private_segment 0
		.amdhsa_system_sgpr_workgroup_id_x 1
		.amdhsa_system_sgpr_workgroup_id_y 0
		.amdhsa_system_sgpr_workgroup_id_z 0
		.amdhsa_system_sgpr_workgroup_info 0
		.amdhsa_system_vgpr_workitem_id 0
		.amdhsa_next_free_vgpr 30
		.amdhsa_next_free_sgpr 16
		.amdhsa_reserve_vcc 1
		.amdhsa_float_round_mode_32 0
		.amdhsa_float_round_mode_16_64 0
		.amdhsa_float_denorm_mode_32 3
		.amdhsa_float_denorm_mode_16_64 3
		.amdhsa_dx10_clamp 1
		.amdhsa_ieee_mode 1
		.amdhsa_fp16_overflow 0
		.amdhsa_workgroup_processor_mode 1
		.amdhsa_memory_ordered 1
		.amdhsa_forward_progress 0
		.amdhsa_shared_vgpr_count 0
		.amdhsa_exception_fp_ieee_invalid_op 0
		.amdhsa_exception_fp_denorm_src 0
		.amdhsa_exception_fp_ieee_div_zero 0
		.amdhsa_exception_fp_ieee_overflow 0
		.amdhsa_exception_fp_ieee_underflow 0
		.amdhsa_exception_fp_ieee_inexact 0
		.amdhsa_exception_int_div_zero 0
	.end_amdhsa_kernel
	.section	.text._Z9sort_keysILj256ELj8EtN10test_utils4lessEEvPT1_T2_,"axG",@progbits,_Z9sort_keysILj256ELj8EtN10test_utils4lessEEvPT1_T2_,comdat
.Lfunc_end6:
	.size	_Z9sort_keysILj256ELj8EtN10test_utils4lessEEvPT1_T2_, .Lfunc_end6-_Z9sort_keysILj256ELj8EtN10test_utils4lessEEvPT1_T2_
                                        ; -- End function
	.section	.AMDGPU.csdata,"",@progbits
; Kernel info:
; codeLenInByte = 1324
; NumSgprs: 18
; NumVgprs: 30
; ScratchSize: 0
; MemoryBound: 0
; FloatMode: 240
; IeeeMode: 1
; LDSByteSize: 0 bytes/workgroup (compile time only)
; SGPRBlocks: 2
; VGPRBlocks: 3
; NumSGPRsForWavesPerEU: 18
; NumVGPRsForWavesPerEU: 30
; Occupancy: 16
; WaveLimiterHint : 0
; COMPUTE_PGM_RSRC2:SCRATCH_EN: 0
; COMPUTE_PGM_RSRC2:USER_SGPR: 15
; COMPUTE_PGM_RSRC2:TRAP_HANDLER: 0
; COMPUTE_PGM_RSRC2:TGID_X_EN: 1
; COMPUTE_PGM_RSRC2:TGID_Y_EN: 0
; COMPUTE_PGM_RSRC2:TGID_Z_EN: 0
; COMPUTE_PGM_RSRC2:TIDIG_COMP_CNT: 0
	.section	.text._Z9sort_keysILj256ELj7EiN10test_utils4lessEEvPT1_T2_,"axG",@progbits,_Z9sort_keysILj256ELj7EiN10test_utils4lessEEvPT1_T2_,comdat
	.protected	_Z9sort_keysILj256ELj7EiN10test_utils4lessEEvPT1_T2_ ; -- Begin function _Z9sort_keysILj256ELj7EiN10test_utils4lessEEvPT1_T2_
	.globl	_Z9sort_keysILj256ELj7EiN10test_utils4lessEEvPT1_T2_
	.p2align	8
	.type	_Z9sort_keysILj256ELj7EiN10test_utils4lessEEvPT1_T2_,@function
_Z9sort_keysILj256ELj7EiN10test_utils4lessEEvPT1_T2_: ; @_Z9sort_keysILj256ELj7EiN10test_utils4lessEEvPT1_T2_
; %bb.0:
	s_load_b64 s[0:1], s[0:1], 0x0
	v_mul_u32_u24_e32 v0, 7, v0
	s_mov_b32 s3, 0
	s_mul_i32 s2, s15, 0x700
	s_delay_alu instid0(SALU_CYCLE_1) | instskip(NEXT) | instid1(VALU_DEP_1)
	s_lshl_b64 s[2:3], s[2:3], 2
	v_lshlrev_b32_e32 v7, 2, v0
	s_waitcnt lgkmcnt(0)
	s_add_u32 s4, s0, s2
	s_addc_u32 s5, s1, s3
	s_clause 0x1
	global_load_b128 v[0:3], v7, s[4:5]
	global_load_b96 v[4:6], v7, s[4:5] offset:16
	s_waitcnt vmcnt(1)
	v_cmp_lt_i32_e32 vcc_lo, v1, v0
	v_cmp_lt_i32_e64 s0, v3, v2
	s_waitcnt vmcnt(0)
	v_max_i32_e32 v15, v5, v4
	v_min_i32_e32 v9, v1, v0
	v_max_i32_e32 v10, v1, v0
	v_cndmask_b32_e32 v8, v0, v1, vcc_lo
	v_cndmask_b32_e64 v11, v3, v2, s0
	v_max_i32_e32 v12, v3, v2
	v_min_i32_e32 v13, v3, v2
	v_cmp_lt_i32_e64 s1, v5, v4
	v_min_i32_e32 v16, v5, v4
	v_cndmask_b32_e32 v0, v1, v0, vcc_lo
	v_cndmask_b32_e64 v1, v2, v3, s0
	v_cmp_lt_i32_e64 s0, v6, v15
	v_cndmask_b32_e64 v14, v5, v4, s1
	v_cndmask_b32_e64 v2, v4, v5, s1
	v_max_i32_e32 v3, v13, v10
	v_min_i32_e32 v4, v13, v10
	v_cmp_lt_i32_e32 vcc_lo, v16, v12
	v_max_i32_e32 v5, v16, v12
	v_min_i32_e32 v17, v16, v12
	v_cndmask_b32_e64 v18, v6, v15, s0
	v_cmp_lt_i32_e64 s1, v13, v10
	v_max_i32_e32 v19, v6, v15
	v_min_i32_e32 v15, v6, v15
	v_cmp_lt_i32_e64 s2, v13, v9
	v_cndmask_b32_e32 v2, v2, v12, vcc_lo
	v_cndmask_b32_e64 v1, v1, v10, s1
	v_cndmask_b32_e64 v0, v0, v13, s1
	v_cndmask_b32_e32 v10, v11, v16, vcc_lo
	v_cndmask_b32_e64 v6, v14, v6, s0
	v_cndmask_b32_e64 v8, v8, v4, s2
	;; [unrolled: 1-line block ×4, first 2 shown]
	v_max_i32_e32 v12, v17, v3
	v_min_i32_e32 v13, v17, v3
	v_cmp_lt_i32_e32 vcc_lo, v15, v5
	v_cmp_lt_i32_e64 s0, v17, v3
	v_min_i32_e32 v16, v15, v5
	v_max_i32_e32 v14, v15, v5
	v_cndmask_b32_e64 v0, v0, v9, s2
	v_cndmask_b32_e32 v2, v2, v15, vcc_lo
	v_cndmask_b32_e64 v3, v10, v3, s0
	v_cndmask_b32_e64 v1, v1, v17, s0
	v_cndmask_b32_e32 v6, v6, v5, vcc_lo
	v_cmp_lt_i32_e32 vcc_lo, v13, v4
	v_min_i32_e32 v10, v13, v4
	v_cmp_gt_i32_e64 s0, v5, v19
	v_cmp_lt_i32_e64 s1, v16, v12
	v_max_i32_e32 v9, v13, v4
	v_cndmask_b32_e32 v1, v1, v4, vcc_lo
	v_max_i32_e32 v5, v16, v12
	v_min_i32_e32 v15, v16, v12
	v_cndmask_b32_e64 v17, v18, v14, s0
	v_cndmask_b32_e64 v18, v19, v14, s0
	;; [unrolled: 1-line block ×4, first 2 shown]
	v_min_i32_e32 v12, v10, v11
	v_cndmask_b32_e32 v0, v0, v13, vcc_lo
	v_cmp_lt_i32_e32 vcc_lo, v10, v11
	v_cndmask_b32_e64 v3, v3, v16, s1
	v_cndmask_b32_e64 v4, v6, v19, s0
	v_max_i32_e32 v13, v15, v9
	v_min_i32_e32 v16, v15, v9
	v_cndmask_b32_e32 v8, v8, v10, vcc_lo
	v_max_i32_e32 v10, v10, v11
	v_cmp_lt_i32_e64 s0, v14, v5
	v_cmp_lt_i32_e64 s1, v15, v9
	v_min_i32_e32 v20, v14, v5
	v_max_i32_e32 v19, v14, v5
	v_cndmask_b32_e32 v0, v0, v11, vcc_lo
	v_cndmask_b32_e64 v4, v4, v5, s0
	v_cndmask_b32_e64 v3, v3, v9, s1
	v_cndmask_b32_e64 v1, v1, v15, s1
	v_cndmask_b32_e64 v2, v2, v14, s0
	v_cmp_lt_i32_e32 vcc_lo, v16, v10
	v_max_i32_e32 v5, v16, v10
	v_cmp_lt_i32_e64 s0, v20, v13
	v_min_i32_e32 v14, v20, v13
	v_max_i32_e32 v11, v20, v13
	v_cmp_lt_i32_e64 s1, v18, v19
	v_min_i32_e32 v15, v18, v19
	v_min_i32_e32 v9, v16, v10
	v_dual_cndmask_b32 v10, v1, v10 :: v_dual_cndmask_b32 v1, v0, v16
	v_cndmask_b32_e64 v13, v2, v13, s0
	v_cndmask_b32_e64 v2, v3, v20, s0
	v_cmp_lt_i32_e32 vcc_lo, v16, v12
	v_cmp_lt_i32_e64 s0, v14, v5
	v_cndmask_b32_e64 v6, v17, v19, s1
	v_cndmask_b32_e64 v4, v4, v18, s1
	v_cmp_lt_i32_e64 s1, v15, v11
	v_dual_cndmask_b32 v1, v1, v12 :: v_dual_cndmask_b32 v0, v8, v9
	v_cndmask_b32_e64 v3, v2, v5, s0
	v_cndmask_b32_e64 v2, v10, v14, s0
	s_delay_alu instid0(VALU_DEP_4)
	v_cndmask_b32_e64 v5, v4, v11, s1
	v_cndmask_b32_e64 v4, v13, v15, s1
	s_clause 0x1
	global_store_b128 v7, v[0:3], s[4:5]
	global_store_b96 v7, v[4:6], s[4:5] offset:16
	s_nop 0
	s_sendmsg sendmsg(MSG_DEALLOC_VGPRS)
	s_endpgm
	.section	.rodata,"a",@progbits
	.p2align	6, 0x0
	.amdhsa_kernel _Z9sort_keysILj256ELj7EiN10test_utils4lessEEvPT1_T2_
		.amdhsa_group_segment_fixed_size 0
		.amdhsa_private_segment_fixed_size 0
		.amdhsa_kernarg_size 12
		.amdhsa_user_sgpr_count 15
		.amdhsa_user_sgpr_dispatch_ptr 0
		.amdhsa_user_sgpr_queue_ptr 0
		.amdhsa_user_sgpr_kernarg_segment_ptr 1
		.amdhsa_user_sgpr_dispatch_id 0
		.amdhsa_user_sgpr_private_segment_size 0
		.amdhsa_wavefront_size32 1
		.amdhsa_uses_dynamic_stack 0
		.amdhsa_enable_private_segment 0
		.amdhsa_system_sgpr_workgroup_id_x 1
		.amdhsa_system_sgpr_workgroup_id_y 0
		.amdhsa_system_sgpr_workgroup_id_z 0
		.amdhsa_system_sgpr_workgroup_info 0
		.amdhsa_system_vgpr_workitem_id 0
		.amdhsa_next_free_vgpr 21
		.amdhsa_next_free_sgpr 16
		.amdhsa_reserve_vcc 1
		.amdhsa_float_round_mode_32 0
		.amdhsa_float_round_mode_16_64 0
		.amdhsa_float_denorm_mode_32 3
		.amdhsa_float_denorm_mode_16_64 3
		.amdhsa_dx10_clamp 1
		.amdhsa_ieee_mode 1
		.amdhsa_fp16_overflow 0
		.amdhsa_workgroup_processor_mode 1
		.amdhsa_memory_ordered 1
		.amdhsa_forward_progress 0
		.amdhsa_shared_vgpr_count 0
		.amdhsa_exception_fp_ieee_invalid_op 0
		.amdhsa_exception_fp_denorm_src 0
		.amdhsa_exception_fp_ieee_div_zero 0
		.amdhsa_exception_fp_ieee_overflow 0
		.amdhsa_exception_fp_ieee_underflow 0
		.amdhsa_exception_fp_ieee_inexact 0
		.amdhsa_exception_int_div_zero 0
	.end_amdhsa_kernel
	.section	.text._Z9sort_keysILj256ELj7EiN10test_utils4lessEEvPT1_T2_,"axG",@progbits,_Z9sort_keysILj256ELj7EiN10test_utils4lessEEvPT1_T2_,comdat
.Lfunc_end7:
	.size	_Z9sort_keysILj256ELj7EiN10test_utils4lessEEvPT1_T2_, .Lfunc_end7-_Z9sort_keysILj256ELj7EiN10test_utils4lessEEvPT1_T2_
                                        ; -- End function
	.section	.AMDGPU.csdata,"",@progbits
; Kernel info:
; codeLenInByte = 688
; NumSgprs: 18
; NumVgprs: 21
; ScratchSize: 0
; MemoryBound: 0
; FloatMode: 240
; IeeeMode: 1
; LDSByteSize: 0 bytes/workgroup (compile time only)
; SGPRBlocks: 2
; VGPRBlocks: 2
; NumSGPRsForWavesPerEU: 18
; NumVGPRsForWavesPerEU: 21
; Occupancy: 16
; WaveLimiterHint : 0
; COMPUTE_PGM_RSRC2:SCRATCH_EN: 0
; COMPUTE_PGM_RSRC2:USER_SGPR: 15
; COMPUTE_PGM_RSRC2:TRAP_HANDLER: 0
; COMPUTE_PGM_RSRC2:TGID_X_EN: 1
; COMPUTE_PGM_RSRC2:TGID_Y_EN: 0
; COMPUTE_PGM_RSRC2:TGID_Z_EN: 0
; COMPUTE_PGM_RSRC2:TIDIG_COMP_CNT: 0
	.section	.text._Z9sort_keysILj256ELj6EfN10test_utils7greaterEEvPT1_T2_,"axG",@progbits,_Z9sort_keysILj256ELj6EfN10test_utils7greaterEEvPT1_T2_,comdat
	.protected	_Z9sort_keysILj256ELj6EfN10test_utils7greaterEEvPT1_T2_ ; -- Begin function _Z9sort_keysILj256ELj6EfN10test_utils7greaterEEvPT1_T2_
	.globl	_Z9sort_keysILj256ELj6EfN10test_utils7greaterEEvPT1_T2_
	.p2align	8
	.type	_Z9sort_keysILj256ELj6EfN10test_utils7greaterEEvPT1_T2_,@function
_Z9sort_keysILj256ELj6EfN10test_utils7greaterEEvPT1_T2_: ; @_Z9sort_keysILj256ELj6EfN10test_utils7greaterEEvPT1_T2_
; %bb.0:
	s_load_b64 s[0:1], s[0:1], 0x0
	v_mul_u32_u24_e32 v0, 6, v0
	s_mov_b32 s3, 0
	s_mul_i32 s2, s15, 0x600
	s_delay_alu instid0(SALU_CYCLE_1) | instskip(NEXT) | instid1(VALU_DEP_1)
	s_lshl_b64 s[2:3], s[2:3], 2
	v_lshlrev_b32_e32 v6, 2, v0
	s_waitcnt lgkmcnt(0)
	s_add_u32 s2, s0, s2
	s_addc_u32 s3, s1, s3
	s_clause 0x1
	global_load_b128 v[0:3], v6, s[2:3]
	global_load_b64 v[4:5], v6, s[2:3] offset:16
	s_waitcnt vmcnt(1)
	v_cmp_gt_f32_e32 vcc_lo, v1, v0
	v_cmp_gt_f32_e64 s0, v3, v2
	s_waitcnt vmcnt(0)
	v_cmp_gt_f32_e64 s1, v5, v4
	v_cndmask_b32_e32 v7, v0, v1, vcc_lo
	s_delay_alu instid0(VALU_DEP_3) | instskip(NEXT) | instid1(VALU_DEP_3)
	v_cndmask_b32_e64 v8, v3, v2, s0
	v_cndmask_b32_e64 v9, v5, v4, s1
	v_cndmask_b32_e32 v0, v1, v0, vcc_lo
	v_cndmask_b32_e64 v1, v2, v3, s0
	v_cndmask_b32_e64 v2, v4, v5, s1
	s_delay_alu instid0(VALU_DEP_2) | instskip(NEXT) | instid1(VALU_DEP_2)
	v_cmp_gt_f32_e32 vcc_lo, v1, v0
	v_cmp_gt_f32_e64 s0, v2, v8
	v_cndmask_b32_e32 v4, v1, v0, vcc_lo
	s_delay_alu instid0(VALU_DEP_2) | instskip(SKIP_2) | instid1(VALU_DEP_3)
	v_cndmask_b32_e64 v3, v2, v8, s0
	v_cndmask_b32_e32 v0, v0, v1, vcc_lo
	v_cndmask_b32_e64 v1, v8, v2, s0
	v_cmp_gt_f32_e32 vcc_lo, v9, v3
	s_delay_alu instid0(VALU_DEP_2) | instskip(SKIP_1) | instid1(VALU_DEP_2)
	v_cmp_gt_f32_e64 s1, v1, v4
	v_dual_cndmask_b32 v2, v9, v3 :: v_dual_cndmask_b32 v3, v3, v9
	v_cndmask_b32_e64 v5, v1, v4, s1
	v_cndmask_b32_e64 v1, v4, v1, s1
	s_delay_alu instid0(VALU_DEP_2) | instskip(SKIP_2) | instid1(VALU_DEP_2)
	v_cmp_gt_f32_e32 vcc_lo, v3, v5
	v_dual_cndmask_b32 v4, v3, v5 :: v_dual_cndmask_b32 v3, v5, v3
	v_cmp_gt_f32_e64 s0, v0, v7
	v_cmp_gt_f32_e32 vcc_lo, v2, v4
	s_delay_alu instid0(VALU_DEP_2) | instskip(SKIP_2) | instid1(VALU_DEP_2)
	v_cndmask_b32_e64 v8, v7, v0, s0
	v_cndmask_b32_e64 v0, v0, v7, s0
	v_dual_cndmask_b32 v5, v2, v4 :: v_dual_cndmask_b32 v2, v4, v2
	v_cmp_gt_f32_e64 s0, v1, v0
	s_delay_alu instid0(VALU_DEP_1) | instskip(SKIP_1) | instid1(VALU_DEP_2)
	v_cndmask_b32_e64 v7, v1, v0, s0
	v_cndmask_b32_e64 v1, v0, v1, s0
	v_cmp_gt_f32_e64 s0, v3, v7
	s_delay_alu instid0(VALU_DEP_2) | instskip(NEXT) | instid1(VALU_DEP_2)
	v_cmp_gt_f32_e64 s1, v1, v8
	v_cndmask_b32_e64 v9, v3, v7, s0
	s_delay_alu instid0(VALU_DEP_2) | instskip(SKIP_2) | instid1(VALU_DEP_4)
	v_cndmask_b32_e64 v0, v8, v1, s1
	v_cndmask_b32_e64 v7, v7, v3, s0
	;; [unrolled: 1-line block ×3, first 2 shown]
	v_cmp_gt_f32_e32 vcc_lo, v2, v9
	s_delay_alu instid0(VALU_DEP_2) | instskip(SKIP_1) | instid1(VALU_DEP_2)
	v_cmp_gt_f32_e64 s0, v7, v1
	v_dual_cndmask_b32 v4, v2, v9 :: v_dual_cndmask_b32 v3, v9, v2
	v_cndmask_b32_e64 v2, v7, v1, s0
	v_cndmask_b32_e64 v1, v1, v7, s0
	s_clause 0x1
	global_store_b128 v6, v[0:3], s[2:3]
	global_store_b64 v6, v[4:5], s[2:3] offset:16
	s_nop 0
	s_sendmsg sendmsg(MSG_DEALLOC_VGPRS)
	s_endpgm
	.section	.rodata,"a",@progbits
	.p2align	6, 0x0
	.amdhsa_kernel _Z9sort_keysILj256ELj6EfN10test_utils7greaterEEvPT1_T2_
		.amdhsa_group_segment_fixed_size 0
		.amdhsa_private_segment_fixed_size 0
		.amdhsa_kernarg_size 12
		.amdhsa_user_sgpr_count 15
		.amdhsa_user_sgpr_dispatch_ptr 0
		.amdhsa_user_sgpr_queue_ptr 0
		.amdhsa_user_sgpr_kernarg_segment_ptr 1
		.amdhsa_user_sgpr_dispatch_id 0
		.amdhsa_user_sgpr_private_segment_size 0
		.amdhsa_wavefront_size32 1
		.amdhsa_uses_dynamic_stack 0
		.amdhsa_enable_private_segment 0
		.amdhsa_system_sgpr_workgroup_id_x 1
		.amdhsa_system_sgpr_workgroup_id_y 0
		.amdhsa_system_sgpr_workgroup_id_z 0
		.amdhsa_system_sgpr_workgroup_info 0
		.amdhsa_system_vgpr_workitem_id 0
		.amdhsa_next_free_vgpr 10
		.amdhsa_next_free_sgpr 16
		.amdhsa_reserve_vcc 1
		.amdhsa_float_round_mode_32 0
		.amdhsa_float_round_mode_16_64 0
		.amdhsa_float_denorm_mode_32 3
		.amdhsa_float_denorm_mode_16_64 3
		.amdhsa_dx10_clamp 1
		.amdhsa_ieee_mode 1
		.amdhsa_fp16_overflow 0
		.amdhsa_workgroup_processor_mode 1
		.amdhsa_memory_ordered 1
		.amdhsa_forward_progress 0
		.amdhsa_shared_vgpr_count 0
		.amdhsa_exception_fp_ieee_invalid_op 0
		.amdhsa_exception_fp_denorm_src 0
		.amdhsa_exception_fp_ieee_div_zero 0
		.amdhsa_exception_fp_ieee_overflow 0
		.amdhsa_exception_fp_ieee_underflow 0
		.amdhsa_exception_fp_ieee_inexact 0
		.amdhsa_exception_int_div_zero 0
	.end_amdhsa_kernel
	.section	.text._Z9sort_keysILj256ELj6EfN10test_utils7greaterEEvPT1_T2_,"axG",@progbits,_Z9sort_keysILj256ELj6EfN10test_utils7greaterEEvPT1_T2_,comdat
.Lfunc_end8:
	.size	_Z9sort_keysILj256ELj6EfN10test_utils7greaterEEvPT1_T2_, .Lfunc_end8-_Z9sort_keysILj256ELj6EfN10test_utils7greaterEEvPT1_T2_
                                        ; -- End function
	.section	.AMDGPU.csdata,"",@progbits
; Kernel info:
; codeLenInByte = 436
; NumSgprs: 18
; NumVgprs: 10
; ScratchSize: 0
; MemoryBound: 0
; FloatMode: 240
; IeeeMode: 1
; LDSByteSize: 0 bytes/workgroup (compile time only)
; SGPRBlocks: 2
; VGPRBlocks: 1
; NumSGPRsForWavesPerEU: 18
; NumVGPRsForWavesPerEU: 10
; Occupancy: 16
; WaveLimiterHint : 0
; COMPUTE_PGM_RSRC2:SCRATCH_EN: 0
; COMPUTE_PGM_RSRC2:USER_SGPR: 15
; COMPUTE_PGM_RSRC2:TRAP_HANDLER: 0
; COMPUTE_PGM_RSRC2:TGID_X_EN: 1
; COMPUTE_PGM_RSRC2:TGID_Y_EN: 0
; COMPUTE_PGM_RSRC2:TGID_Z_EN: 0
; COMPUTE_PGM_RSRC2:TIDIG_COMP_CNT: 0
	.section	.text._Z9sort_keysILj256ELj5EtN10test_utils4lessEEvPT1_T2_,"axG",@progbits,_Z9sort_keysILj256ELj5EtN10test_utils4lessEEvPT1_T2_,comdat
	.protected	_Z9sort_keysILj256ELj5EtN10test_utils4lessEEvPT1_T2_ ; -- Begin function _Z9sort_keysILj256ELj5EtN10test_utils4lessEEvPT1_T2_
	.globl	_Z9sort_keysILj256ELj5EtN10test_utils4lessEEvPT1_T2_
	.p2align	8
	.type	_Z9sort_keysILj256ELj5EtN10test_utils4lessEEvPT1_T2_,@function
_Z9sort_keysILj256ELj5EtN10test_utils4lessEEvPT1_T2_: ; @_Z9sort_keysILj256ELj5EtN10test_utils4lessEEvPT1_T2_
; %bb.0:
	s_load_b64 s[0:1], s[0:1], 0x0
	v_mul_u32_u24_e32 v0, 5, v0
	s_mov_b32 s3, 0
	s_mul_i32 s2, s15, 0x500
	s_delay_alu instid0(SALU_CYCLE_1) | instskip(NEXT) | instid1(VALU_DEP_1)
	s_lshl_b64 s[2:3], s[2:3], 1
	v_lshlrev_b32_e32 v2, 1, v0
	s_waitcnt lgkmcnt(0)
	s_add_u32 s2, s0, s2
	s_addc_u32 s3, s1, s3
	s_clause 0x1
	global_load_b64 v[0:1], v2, s[2:3]
	global_load_u16 v3, v2, s[2:3] offset:8
	s_waitcnt vmcnt(1)
	v_lshrrev_b32_e32 v4, 16, v0
	v_alignbit_b32 v5, v0, v0, 16
	v_lshrrev_b32_e32 v6, 16, v1
	v_alignbit_b32 v7, v1, v1, 16
	s_delay_alu instid0(VALU_DEP_4) | instskip(SKIP_1) | instid1(VALU_DEP_4)
	v_cmp_lt_u16_e32 vcc_lo, v4, v0
	v_max_u16 v8, v4, v0
	v_min_u16 v9, v6, v1
	v_cndmask_b32_e32 v5, v0, v5, vcc_lo
	v_cmp_lt_u16_e32 vcc_lo, v6, v1
	v_min_u16 v0, v4, v0
	s_delay_alu instid0(VALU_DEP_3) | instskip(SKIP_4) | instid1(VALU_DEP_4)
	v_perm_b32 v10, v9, v5, 0x5040100
	v_cndmask_b32_e32 v7, v1, v7, vcc_lo
	v_cmp_lt_u16_e32 vcc_lo, v9, v8
	v_max_u16 v1, v6, v1
	v_min_u16 v6, v9, v8
	v_bfi_b32 v11, 0xffff, v8, v7
	v_cndmask_b32_e32 v4, v5, v10, vcc_lo
	s_waitcnt vmcnt(0)
	v_cmp_lt_u16_e64 s0, v3, v1
	v_max_u16 v12, v3, v1
	v_cndmask_b32_e32 v5, v7, v11, vcc_lo
	v_max_u16 v7, v9, v8
	v_min_u16 v8, v3, v1
	v_cmp_lt_u16_e32 vcc_lo, v9, v0
	v_perm_b32 v11, v0, v6, 0x5040100
	v_perm_b32 v10, v3, v5, 0x5040100
	v_cndmask_b32_e64 v1, v3, v1, s0
	v_perm_b32 v9, v7, v8, 0x5040100
	v_cmp_lt_u16_e64 s1, v8, v7
	v_cndmask_b32_e32 v4, v4, v11, vcc_lo
	v_cndmask_b32_e64 v5, v5, v10, s0
	v_cndmask_b32_e32 v10, v6, v0, vcc_lo
	v_cndmask_b32_e32 v0, v0, v6, vcc_lo
	v_cmp_gt_u16_e32 vcc_lo, v7, v12
	s_delay_alu instid0(VALU_DEP_4) | instskip(SKIP_2) | instid1(VALU_DEP_3)
	v_cndmask_b32_e64 v5, v5, v9, s1
	v_min_u16 v9, v8, v7
	v_max_u16 v8, v8, v7
	v_bfi_b32 v11, 0xffff, v10, v5
	s_delay_alu instid0(VALU_DEP_3) | instskip(NEXT) | instid1(VALU_DEP_1)
	v_cmp_lt_u16_e64 s1, v9, v10
	v_cndmask_b32_e64 v5, v5, v11, s1
	v_max_u16 v11, v9, v10
	s_delay_alu instid0(VALU_DEP_2) | instskip(NEXT) | instid1(VALU_DEP_1)
	v_perm_b32 v6, v12, v5, 0x5040100
	v_cndmask_b32_e32 v5, v5, v6, vcc_lo
	v_perm_b32 v7, v9, v4, 0x5040100
	v_min_u16 v9, v9, v10
	v_cndmask_b32_e32 v6, v8, v12, vcc_lo
	v_cndmask_b32_e32 v8, v1, v8, vcc_lo
	s_delay_alu instid0(VALU_DEP_4) | instskip(NEXT) | instid1(VALU_DEP_4)
	v_cndmask_b32_e64 v3, v4, v7, s1
	v_perm_b32 v4, v0, v9, 0x5040100
	v_cmp_lt_u16_e32 vcc_lo, v9, v0
	v_perm_b32 v7, v11, v6, 0x5040100
	s_delay_alu instid0(VALU_DEP_3) | instskip(SKIP_1) | instid1(VALU_DEP_3)
	v_cndmask_b32_e32 v0, v3, v4, vcc_lo
	v_cmp_lt_u16_e32 vcc_lo, v6, v11
	v_cndmask_b32_e32 v1, v5, v7, vcc_lo
	s_clause 0x1
	global_store_b16 v2, v8, s[2:3] offset:8
	global_store_b64 v2, v[0:1], s[2:3]
	s_nop 0
	s_sendmsg sendmsg(MSG_DEALLOC_VGPRS)
	s_endpgm
	.section	.rodata,"a",@progbits
	.p2align	6, 0x0
	.amdhsa_kernel _Z9sort_keysILj256ELj5EtN10test_utils4lessEEvPT1_T2_
		.amdhsa_group_segment_fixed_size 0
		.amdhsa_private_segment_fixed_size 0
		.amdhsa_kernarg_size 12
		.amdhsa_user_sgpr_count 15
		.amdhsa_user_sgpr_dispatch_ptr 0
		.amdhsa_user_sgpr_queue_ptr 0
		.amdhsa_user_sgpr_kernarg_segment_ptr 1
		.amdhsa_user_sgpr_dispatch_id 0
		.amdhsa_user_sgpr_private_segment_size 0
		.amdhsa_wavefront_size32 1
		.amdhsa_uses_dynamic_stack 0
		.amdhsa_enable_private_segment 0
		.amdhsa_system_sgpr_workgroup_id_x 1
		.amdhsa_system_sgpr_workgroup_id_y 0
		.amdhsa_system_sgpr_workgroup_id_z 0
		.amdhsa_system_sgpr_workgroup_info 0
		.amdhsa_system_vgpr_workitem_id 0
		.amdhsa_next_free_vgpr 13
		.amdhsa_next_free_sgpr 16
		.amdhsa_reserve_vcc 1
		.amdhsa_float_round_mode_32 0
		.amdhsa_float_round_mode_16_64 0
		.amdhsa_float_denorm_mode_32 3
		.amdhsa_float_denorm_mode_16_64 3
		.amdhsa_dx10_clamp 1
		.amdhsa_ieee_mode 1
		.amdhsa_fp16_overflow 0
		.amdhsa_workgroup_processor_mode 1
		.amdhsa_memory_ordered 1
		.amdhsa_forward_progress 0
		.amdhsa_shared_vgpr_count 0
		.amdhsa_exception_fp_ieee_invalid_op 0
		.amdhsa_exception_fp_denorm_src 0
		.amdhsa_exception_fp_ieee_div_zero 0
		.amdhsa_exception_fp_ieee_overflow 0
		.amdhsa_exception_fp_ieee_underflow 0
		.amdhsa_exception_fp_ieee_inexact 0
		.amdhsa_exception_int_div_zero 0
	.end_amdhsa_kernel
	.section	.text._Z9sort_keysILj256ELj5EtN10test_utils4lessEEvPT1_T2_,"axG",@progbits,_Z9sort_keysILj256ELj5EtN10test_utils4lessEEvPT1_T2_,comdat
.Lfunc_end9:
	.size	_Z9sort_keysILj256ELj5EtN10test_utils4lessEEvPT1_T2_, .Lfunc_end9-_Z9sort_keysILj256ELj5EtN10test_utils4lessEEvPT1_T2_
                                        ; -- End function
	.section	.AMDGPU.csdata,"",@progbits
; Kernel info:
; codeLenInByte = 516
; NumSgprs: 18
; NumVgprs: 13
; ScratchSize: 0
; MemoryBound: 0
; FloatMode: 240
; IeeeMode: 1
; LDSByteSize: 0 bytes/workgroup (compile time only)
; SGPRBlocks: 2
; VGPRBlocks: 1
; NumSGPRsForWavesPerEU: 18
; NumVGPRsForWavesPerEU: 13
; Occupancy: 16
; WaveLimiterHint : 0
; COMPUTE_PGM_RSRC2:SCRATCH_EN: 0
; COMPUTE_PGM_RSRC2:USER_SGPR: 15
; COMPUTE_PGM_RSRC2:TRAP_HANDLER: 0
; COMPUTE_PGM_RSRC2:TGID_X_EN: 1
; COMPUTE_PGM_RSRC2:TGID_Y_EN: 0
; COMPUTE_PGM_RSRC2:TGID_Z_EN: 0
; COMPUTE_PGM_RSRC2:TIDIG_COMP_CNT: 0
	.section	.text._Z9sort_keysILj256ELj4EjN10test_utils4lessEEvPT1_T2_,"axG",@progbits,_Z9sort_keysILj256ELj4EjN10test_utils4lessEEvPT1_T2_,comdat
	.protected	_Z9sort_keysILj256ELj4EjN10test_utils4lessEEvPT1_T2_ ; -- Begin function _Z9sort_keysILj256ELj4EjN10test_utils4lessEEvPT1_T2_
	.globl	_Z9sort_keysILj256ELj4EjN10test_utils4lessEEvPT1_T2_
	.p2align	8
	.type	_Z9sort_keysILj256ELj4EjN10test_utils4lessEEvPT1_T2_,@function
_Z9sort_keysILj256ELj4EjN10test_utils4lessEEvPT1_T2_: ; @_Z9sort_keysILj256ELj4EjN10test_utils4lessEEvPT1_T2_
; %bb.0:
	s_load_b64 s[0:1], s[0:1], 0x0
	s_mov_b32 s3, 0
	s_lshl_b32 s2, s15, 10
	v_lshlrev_b32_e32 v4, 4, v0
	s_lshl_b64 s[2:3], s[2:3], 2
	s_waitcnt lgkmcnt(0)
	s_add_u32 s2, s0, s2
	s_addc_u32 s3, s1, s3
	global_load_b128 v[0:3], v4, s[2:3]
	s_waitcnt vmcnt(0)
	v_cmp_lt_u32_e32 vcc_lo, v1, v0
	v_max_u32_e32 v7, v1, v0
	v_cmp_lt_u32_e64 s0, v3, v2
	v_min_u32_e32 v8, v3, v2
	v_min_u32_e32 v6, v1, v0
	v_cndmask_b32_e32 v5, v0, v1, vcc_lo
	v_max_u32_e32 v10, v3, v2
	v_cndmask_b32_e32 v0, v1, v0, vcc_lo
	v_cndmask_b32_e64 v1, v2, v3, s0
	v_cmp_lt_u32_e32 vcc_lo, v8, v7
	v_cndmask_b32_e64 v9, v3, v2, s0
	v_max_u32_e32 v2, v8, v7
	v_min_u32_e32 v3, v8, v7
	v_cmp_lt_u32_e64 s0, v8, v6
	v_cmp_gt_u32_e64 s1, v7, v10
	v_cndmask_b32_e32 v1, v1, v7, vcc_lo
	s_delay_alu instid0(VALU_DEP_1)
	v_cndmask_b32_e64 v1, v1, v10, s1
	v_cndmask_b32_e32 v7, v0, v8, vcc_lo
	v_cndmask_b32_e64 v0, v5, v3, s0
	v_cndmask_b32_e64 v5, v3, v6, s0
	;; [unrolled: 1-line block ×4, first 2 shown]
	s_delay_alu instid0(VALU_DEP_2) | instskip(SKIP_2) | instid1(VALU_DEP_1)
	v_cmp_lt_u32_e32 vcc_lo, v8, v5
	v_cndmask_b32_e32 v2, v1, v5, vcc_lo
	v_cndmask_b32_e64 v6, v7, v6, s0
	v_cndmask_b32_e32 v1, v6, v8, vcc_lo
	global_store_b128 v4, v[0:3], s[2:3]
	s_nop 0
	s_sendmsg sendmsg(MSG_DEALLOC_VGPRS)
	s_endpgm
	.section	.rodata,"a",@progbits
	.p2align	6, 0x0
	.amdhsa_kernel _Z9sort_keysILj256ELj4EjN10test_utils4lessEEvPT1_T2_
		.amdhsa_group_segment_fixed_size 0
		.amdhsa_private_segment_fixed_size 0
		.amdhsa_kernarg_size 12
		.amdhsa_user_sgpr_count 15
		.amdhsa_user_sgpr_dispatch_ptr 0
		.amdhsa_user_sgpr_queue_ptr 0
		.amdhsa_user_sgpr_kernarg_segment_ptr 1
		.amdhsa_user_sgpr_dispatch_id 0
		.amdhsa_user_sgpr_private_segment_size 0
		.amdhsa_wavefront_size32 1
		.amdhsa_uses_dynamic_stack 0
		.amdhsa_enable_private_segment 0
		.amdhsa_system_sgpr_workgroup_id_x 1
		.amdhsa_system_sgpr_workgroup_id_y 0
		.amdhsa_system_sgpr_workgroup_id_z 0
		.amdhsa_system_sgpr_workgroup_info 0
		.amdhsa_system_vgpr_workitem_id 0
		.amdhsa_next_free_vgpr 11
		.amdhsa_next_free_sgpr 16
		.amdhsa_reserve_vcc 1
		.amdhsa_float_round_mode_32 0
		.amdhsa_float_round_mode_16_64 0
		.amdhsa_float_denorm_mode_32 3
		.amdhsa_float_denorm_mode_16_64 3
		.amdhsa_dx10_clamp 1
		.amdhsa_ieee_mode 1
		.amdhsa_fp16_overflow 0
		.amdhsa_workgroup_processor_mode 1
		.amdhsa_memory_ordered 1
		.amdhsa_forward_progress 0
		.amdhsa_shared_vgpr_count 0
		.amdhsa_exception_fp_ieee_invalid_op 0
		.amdhsa_exception_fp_denorm_src 0
		.amdhsa_exception_fp_ieee_div_zero 0
		.amdhsa_exception_fp_ieee_overflow 0
		.amdhsa_exception_fp_ieee_underflow 0
		.amdhsa_exception_fp_ieee_inexact 0
		.amdhsa_exception_int_div_zero 0
	.end_amdhsa_kernel
	.section	.text._Z9sort_keysILj256ELj4EjN10test_utils4lessEEvPT1_T2_,"axG",@progbits,_Z9sort_keysILj256ELj4EjN10test_utils4lessEEvPT1_T2_,comdat
.Lfunc_end10:
	.size	_Z9sort_keysILj256ELj4EjN10test_utils4lessEEvPT1_T2_, .Lfunc_end10-_Z9sort_keysILj256ELj4EjN10test_utils4lessEEvPT1_T2_
                                        ; -- End function
	.section	.AMDGPU.csdata,"",@progbits
; Kernel info:
; codeLenInByte = 224
; NumSgprs: 18
; NumVgprs: 11
; ScratchSize: 0
; MemoryBound: 0
; FloatMode: 240
; IeeeMode: 1
; LDSByteSize: 0 bytes/workgroup (compile time only)
; SGPRBlocks: 2
; VGPRBlocks: 1
; NumSGPRsForWavesPerEU: 18
; NumVGPRsForWavesPerEU: 11
; Occupancy: 16
; WaveLimiterHint : 0
; COMPUTE_PGM_RSRC2:SCRATCH_EN: 0
; COMPUTE_PGM_RSRC2:USER_SGPR: 15
; COMPUTE_PGM_RSRC2:TRAP_HANDLER: 0
; COMPUTE_PGM_RSRC2:TGID_X_EN: 1
; COMPUTE_PGM_RSRC2:TGID_Y_EN: 0
; COMPUTE_PGM_RSRC2:TGID_Z_EN: 0
; COMPUTE_PGM_RSRC2:TIDIG_COMP_CNT: 0
	.section	.text._Z9sort_keysILj256ELj3EiN10test_utils4lessEEvPT1_T2_,"axG",@progbits,_Z9sort_keysILj256ELj3EiN10test_utils4lessEEvPT1_T2_,comdat
	.protected	_Z9sort_keysILj256ELj3EiN10test_utils4lessEEvPT1_T2_ ; -- Begin function _Z9sort_keysILj256ELj3EiN10test_utils4lessEEvPT1_T2_
	.globl	_Z9sort_keysILj256ELj3EiN10test_utils4lessEEvPT1_T2_
	.p2align	8
	.type	_Z9sort_keysILj256ELj3EiN10test_utils4lessEEvPT1_T2_,@function
_Z9sort_keysILj256ELj3EiN10test_utils4lessEEvPT1_T2_: ; @_Z9sort_keysILj256ELj3EiN10test_utils4lessEEvPT1_T2_
; %bb.0:
	s_load_b64 s[0:1], s[0:1], 0x0
	v_mul_u32_u24_e32 v0, 3, v0
	s_mov_b32 s3, 0
	s_mul_i32 s2, s15, 0x300
	s_delay_alu instid0(SALU_CYCLE_1) | instskip(NEXT) | instid1(VALU_DEP_1)
	s_lshl_b64 s[2:3], s[2:3], 2
	v_lshlrev_b32_e32 v4, 2, v0
	s_waitcnt lgkmcnt(0)
	s_add_u32 s0, s0, s2
	s_addc_u32 s1, s1, s3
	global_load_b96 v[0:2], v4, s[0:1]
	s_waitcnt vmcnt(0)
	v_cmp_lt_i32_e32 vcc_lo, v1, v0
	v_max_i32_e32 v5, v1, v0
	v_dual_cndmask_b32 v6, v0, v1 :: v_dual_cndmask_b32 v7, v1, v0
	s_delay_alu instid0(VALU_DEP_2) | instskip(SKIP_4) | instid1(VALU_DEP_4)
	v_cmp_lt_i32_e32 vcc_lo, v2, v5
	v_min_i32_e32 v0, v1, v0
	v_min_i32_e32 v1, v2, v5
	v_cndmask_b32_e32 v3, v2, v5, vcc_lo
	v_cndmask_b32_e32 v5, v7, v2, vcc_lo
	v_cmp_lt_i32_e32 vcc_lo, v2, v0
	s_delay_alu instid0(VALU_DEP_2)
	v_dual_cndmask_b32 v1, v6, v1 :: v_dual_cndmask_b32 v2, v5, v0
	global_store_b96 v4, v[1:3], s[0:1]
	s_nop 0
	s_sendmsg sendmsg(MSG_DEALLOC_VGPRS)
	s_endpgm
	.section	.rodata,"a",@progbits
	.p2align	6, 0x0
	.amdhsa_kernel _Z9sort_keysILj256ELj3EiN10test_utils4lessEEvPT1_T2_
		.amdhsa_group_segment_fixed_size 0
		.amdhsa_private_segment_fixed_size 0
		.amdhsa_kernarg_size 12
		.amdhsa_user_sgpr_count 15
		.amdhsa_user_sgpr_dispatch_ptr 0
		.amdhsa_user_sgpr_queue_ptr 0
		.amdhsa_user_sgpr_kernarg_segment_ptr 1
		.amdhsa_user_sgpr_dispatch_id 0
		.amdhsa_user_sgpr_private_segment_size 0
		.amdhsa_wavefront_size32 1
		.amdhsa_uses_dynamic_stack 0
		.amdhsa_enable_private_segment 0
		.amdhsa_system_sgpr_workgroup_id_x 1
		.amdhsa_system_sgpr_workgroup_id_y 0
		.amdhsa_system_sgpr_workgroup_id_z 0
		.amdhsa_system_sgpr_workgroup_info 0
		.amdhsa_system_vgpr_workitem_id 0
		.amdhsa_next_free_vgpr 8
		.amdhsa_next_free_sgpr 16
		.amdhsa_reserve_vcc 1
		.amdhsa_float_round_mode_32 0
		.amdhsa_float_round_mode_16_64 0
		.amdhsa_float_denorm_mode_32 3
		.amdhsa_float_denorm_mode_16_64 3
		.amdhsa_dx10_clamp 1
		.amdhsa_ieee_mode 1
		.amdhsa_fp16_overflow 0
		.amdhsa_workgroup_processor_mode 1
		.amdhsa_memory_ordered 1
		.amdhsa_forward_progress 0
		.amdhsa_shared_vgpr_count 0
		.amdhsa_exception_fp_ieee_invalid_op 0
		.amdhsa_exception_fp_denorm_src 0
		.amdhsa_exception_fp_ieee_div_zero 0
		.amdhsa_exception_fp_ieee_overflow 0
		.amdhsa_exception_fp_ieee_underflow 0
		.amdhsa_exception_fp_ieee_inexact 0
		.amdhsa_exception_int_div_zero 0
	.end_amdhsa_kernel
	.section	.text._Z9sort_keysILj256ELj3EiN10test_utils4lessEEvPT1_T2_,"axG",@progbits,_Z9sort_keysILj256ELj3EiN10test_utils4lessEEvPT1_T2_,comdat
.Lfunc_end11:
	.size	_Z9sort_keysILj256ELj3EiN10test_utils4lessEEvPT1_T2_, .Lfunc_end11-_Z9sort_keysILj256ELj3EiN10test_utils4lessEEvPT1_T2_
                                        ; -- End function
	.section	.AMDGPU.csdata,"",@progbits
; Kernel info:
; codeLenInByte = 136
; NumSgprs: 18
; NumVgprs: 8
; ScratchSize: 0
; MemoryBound: 0
; FloatMode: 240
; IeeeMode: 1
; LDSByteSize: 0 bytes/workgroup (compile time only)
; SGPRBlocks: 2
; VGPRBlocks: 0
; NumSGPRsForWavesPerEU: 18
; NumVGPRsForWavesPerEU: 8
; Occupancy: 16
; WaveLimiterHint : 0
; COMPUTE_PGM_RSRC2:SCRATCH_EN: 0
; COMPUTE_PGM_RSRC2:USER_SGPR: 15
; COMPUTE_PGM_RSRC2:TRAP_HANDLER: 0
; COMPUTE_PGM_RSRC2:TGID_X_EN: 1
; COMPUTE_PGM_RSRC2:TGID_Y_EN: 0
; COMPUTE_PGM_RSRC2:TGID_Z_EN: 0
; COMPUTE_PGM_RSRC2:TIDIG_COMP_CNT: 0
	.section	.text._Z9sort_keysILj256ELj2EjN10test_utils4lessEEvPT1_T2_,"axG",@progbits,_Z9sort_keysILj256ELj2EjN10test_utils4lessEEvPT1_T2_,comdat
	.protected	_Z9sort_keysILj256ELj2EjN10test_utils4lessEEvPT1_T2_ ; -- Begin function _Z9sort_keysILj256ELj2EjN10test_utils4lessEEvPT1_T2_
	.globl	_Z9sort_keysILj256ELj2EjN10test_utils4lessEEvPT1_T2_
	.p2align	8
	.type	_Z9sort_keysILj256ELj2EjN10test_utils4lessEEvPT1_T2_,@function
_Z9sort_keysILj256ELj2EjN10test_utils4lessEEvPT1_T2_: ; @_Z9sort_keysILj256ELj2EjN10test_utils4lessEEvPT1_T2_
; %bb.0:
	s_load_b64 s[0:1], s[0:1], 0x0
	s_lshl_b32 s2, s15, 9
	s_mov_b32 s3, 0
	v_lshlrev_b32_e32 v3, 3, v0
	s_lshl_b64 s[2:3], s[2:3], 2
	s_waitcnt lgkmcnt(0)
	s_add_u32 s0, s0, s2
	s_addc_u32 s1, s1, s3
	global_load_b64 v[0:1], v3, s[0:1]
	s_waitcnt vmcnt(0)
	v_cmp_lt_u32_e32 vcc_lo, v1, v0
	v_dual_cndmask_b32 v2, v1, v0 :: v_dual_cndmask_b32 v1, v0, v1
	global_store_b64 v3, v[1:2], s[0:1]
	s_nop 0
	s_sendmsg sendmsg(MSG_DEALLOC_VGPRS)
	s_endpgm
	.section	.rodata,"a",@progbits
	.p2align	6, 0x0
	.amdhsa_kernel _Z9sort_keysILj256ELj2EjN10test_utils4lessEEvPT1_T2_
		.amdhsa_group_segment_fixed_size 0
		.amdhsa_private_segment_fixed_size 0
		.amdhsa_kernarg_size 12
		.amdhsa_user_sgpr_count 15
		.amdhsa_user_sgpr_dispatch_ptr 0
		.amdhsa_user_sgpr_queue_ptr 0
		.amdhsa_user_sgpr_kernarg_segment_ptr 1
		.amdhsa_user_sgpr_dispatch_id 0
		.amdhsa_user_sgpr_private_segment_size 0
		.amdhsa_wavefront_size32 1
		.amdhsa_uses_dynamic_stack 0
		.amdhsa_enable_private_segment 0
		.amdhsa_system_sgpr_workgroup_id_x 1
		.amdhsa_system_sgpr_workgroup_id_y 0
		.amdhsa_system_sgpr_workgroup_id_z 0
		.amdhsa_system_sgpr_workgroup_info 0
		.amdhsa_system_vgpr_workitem_id 0
		.amdhsa_next_free_vgpr 4
		.amdhsa_next_free_sgpr 16
		.amdhsa_reserve_vcc 1
		.amdhsa_float_round_mode_32 0
		.amdhsa_float_round_mode_16_64 0
		.amdhsa_float_denorm_mode_32 3
		.amdhsa_float_denorm_mode_16_64 3
		.amdhsa_dx10_clamp 1
		.amdhsa_ieee_mode 1
		.amdhsa_fp16_overflow 0
		.amdhsa_workgroup_processor_mode 1
		.amdhsa_memory_ordered 1
		.amdhsa_forward_progress 0
		.amdhsa_shared_vgpr_count 0
		.amdhsa_exception_fp_ieee_invalid_op 0
		.amdhsa_exception_fp_denorm_src 0
		.amdhsa_exception_fp_ieee_div_zero 0
		.amdhsa_exception_fp_ieee_overflow 0
		.amdhsa_exception_fp_ieee_underflow 0
		.amdhsa_exception_fp_ieee_inexact 0
		.amdhsa_exception_int_div_zero 0
	.end_amdhsa_kernel
	.section	.text._Z9sort_keysILj256ELj2EjN10test_utils4lessEEvPT1_T2_,"axG",@progbits,_Z9sort_keysILj256ELj2EjN10test_utils4lessEEvPT1_T2_,comdat
.Lfunc_end12:
	.size	_Z9sort_keysILj256ELj2EjN10test_utils4lessEEvPT1_T2_, .Lfunc_end12-_Z9sort_keysILj256ELj2EjN10test_utils4lessEEvPT1_T2_
                                        ; -- End function
	.section	.AMDGPU.csdata,"",@progbits
; Kernel info:
; codeLenInByte = 80
; NumSgprs: 18
; NumVgprs: 4
; ScratchSize: 0
; MemoryBound: 0
; FloatMode: 240
; IeeeMode: 1
; LDSByteSize: 0 bytes/workgroup (compile time only)
; SGPRBlocks: 2
; VGPRBlocks: 0
; NumSGPRsForWavesPerEU: 18
; NumVGPRsForWavesPerEU: 4
; Occupancy: 16
; WaveLimiterHint : 0
; COMPUTE_PGM_RSRC2:SCRATCH_EN: 0
; COMPUTE_PGM_RSRC2:USER_SGPR: 15
; COMPUTE_PGM_RSRC2:TRAP_HANDLER: 0
; COMPUTE_PGM_RSRC2:TGID_X_EN: 1
; COMPUTE_PGM_RSRC2:TGID_Y_EN: 0
; COMPUTE_PGM_RSRC2:TGID_Z_EN: 0
; COMPUTE_PGM_RSRC2:TIDIG_COMP_CNT: 0
	.section	.text._Z9sort_keysILj256ELj1EiN10test_utils4lessEEvPT1_T2_,"axG",@progbits,_Z9sort_keysILj256ELj1EiN10test_utils4lessEEvPT1_T2_,comdat
	.protected	_Z9sort_keysILj256ELj1EiN10test_utils4lessEEvPT1_T2_ ; -- Begin function _Z9sort_keysILj256ELj1EiN10test_utils4lessEEvPT1_T2_
	.globl	_Z9sort_keysILj256ELj1EiN10test_utils4lessEEvPT1_T2_
	.p2align	8
	.type	_Z9sort_keysILj256ELj1EiN10test_utils4lessEEvPT1_T2_,@function
_Z9sort_keysILj256ELj1EiN10test_utils4lessEEvPT1_T2_: ; @_Z9sort_keysILj256ELj1EiN10test_utils4lessEEvPT1_T2_
; %bb.0:
	s_endpgm
	.section	.rodata,"a",@progbits
	.p2align	6, 0x0
	.amdhsa_kernel _Z9sort_keysILj256ELj1EiN10test_utils4lessEEvPT1_T2_
		.amdhsa_group_segment_fixed_size 0
		.amdhsa_private_segment_fixed_size 0
		.amdhsa_kernarg_size 12
		.amdhsa_user_sgpr_count 15
		.amdhsa_user_sgpr_dispatch_ptr 0
		.amdhsa_user_sgpr_queue_ptr 0
		.amdhsa_user_sgpr_kernarg_segment_ptr 1
		.amdhsa_user_sgpr_dispatch_id 0
		.amdhsa_user_sgpr_private_segment_size 0
		.amdhsa_wavefront_size32 1
		.amdhsa_uses_dynamic_stack 0
		.amdhsa_enable_private_segment 0
		.amdhsa_system_sgpr_workgroup_id_x 1
		.amdhsa_system_sgpr_workgroup_id_y 0
		.amdhsa_system_sgpr_workgroup_id_z 0
		.amdhsa_system_sgpr_workgroup_info 0
		.amdhsa_system_vgpr_workitem_id 0
		.amdhsa_next_free_vgpr 1
		.amdhsa_next_free_sgpr 1
		.amdhsa_reserve_vcc 0
		.amdhsa_float_round_mode_32 0
		.amdhsa_float_round_mode_16_64 0
		.amdhsa_float_denorm_mode_32 3
		.amdhsa_float_denorm_mode_16_64 3
		.amdhsa_dx10_clamp 1
		.amdhsa_ieee_mode 1
		.amdhsa_fp16_overflow 0
		.amdhsa_workgroup_processor_mode 1
		.amdhsa_memory_ordered 1
		.amdhsa_forward_progress 0
		.amdhsa_shared_vgpr_count 0
		.amdhsa_exception_fp_ieee_invalid_op 0
		.amdhsa_exception_fp_denorm_src 0
		.amdhsa_exception_fp_ieee_div_zero 0
		.amdhsa_exception_fp_ieee_overflow 0
		.amdhsa_exception_fp_ieee_underflow 0
		.amdhsa_exception_fp_ieee_inexact 0
		.amdhsa_exception_int_div_zero 0
	.end_amdhsa_kernel
	.section	.text._Z9sort_keysILj256ELj1EiN10test_utils4lessEEvPT1_T2_,"axG",@progbits,_Z9sort_keysILj256ELj1EiN10test_utils4lessEEvPT1_T2_,comdat
.Lfunc_end13:
	.size	_Z9sort_keysILj256ELj1EiN10test_utils4lessEEvPT1_T2_, .Lfunc_end13-_Z9sort_keysILj256ELj1EiN10test_utils4lessEEvPT1_T2_
                                        ; -- End function
	.section	.AMDGPU.csdata,"",@progbits
; Kernel info:
; codeLenInByte = 4
; NumSgprs: 0
; NumVgprs: 0
; ScratchSize: 0
; MemoryBound: 0
; FloatMode: 240
; IeeeMode: 1
; LDSByteSize: 0 bytes/workgroup (compile time only)
; SGPRBlocks: 0
; VGPRBlocks: 0
; NumSGPRsForWavesPerEU: 1
; NumVGPRsForWavesPerEU: 1
; Occupancy: 16
; WaveLimiterHint : 0
; COMPUTE_PGM_RSRC2:SCRATCH_EN: 0
; COMPUTE_PGM_RSRC2:USER_SGPR: 15
; COMPUTE_PGM_RSRC2:TRAP_HANDLER: 0
; COMPUTE_PGM_RSRC2:TGID_X_EN: 1
; COMPUTE_PGM_RSRC2:TGID_Y_EN: 0
; COMPUTE_PGM_RSRC2:TGID_Z_EN: 0
; COMPUTE_PGM_RSRC2:TIDIG_COMP_CNT: 0
	.section	.text._Z16sort_keys_valuesILj256ELj7E12hip_bfloat16iN10test_utils4lessEEvPT1_PT2_T3_,"axG",@progbits,_Z16sort_keys_valuesILj256ELj7E12hip_bfloat16iN10test_utils4lessEEvPT1_PT2_T3_,comdat
	.protected	_Z16sort_keys_valuesILj256ELj7E12hip_bfloat16iN10test_utils4lessEEvPT1_PT2_T3_ ; -- Begin function _Z16sort_keys_valuesILj256ELj7E12hip_bfloat16iN10test_utils4lessEEvPT1_PT2_T3_
	.globl	_Z16sort_keys_valuesILj256ELj7E12hip_bfloat16iN10test_utils4lessEEvPT1_PT2_T3_
	.p2align	8
	.type	_Z16sort_keys_valuesILj256ELj7E12hip_bfloat16iN10test_utils4lessEEvPT1_PT2_T3_,@function
_Z16sort_keys_valuesILj256ELj7E12hip_bfloat16iN10test_utils4lessEEvPT1_PT2_T3_: ; @_Z16sort_keys_valuesILj256ELj7E12hip_bfloat16iN10test_utils4lessEEvPT1_PT2_T3_
; %bb.0:
	s_load_b128 s[4:7], s[0:1], 0x0
	v_mul_u32_u24_e32 v0, 7, v0
	s_mov_b32 s1, 0
	s_mul_i32 s0, s15, 0x700
	s_delay_alu instid0(SALU_CYCLE_1) | instskip(NEXT) | instid1(VALU_DEP_1)
	s_lshl_b64 s[2:3], s[0:1], 1
	v_lshlrev_b32_e32 v10, 1, v0
	s_waitcnt lgkmcnt(0)
	s_add_u32 s2, s4, s2
	s_addc_u32 s3, s5, s3
	s_lshl_b64 s[0:1], s[0:1], 2
	s_clause 0x1
	global_load_b96 v[4:6], v10, s[2:3]
	global_load_u16 v11, v10, s[2:3] offset:12
	s_add_u32 s4, s6, s0
	s_addc_u32 s5, s7, s1
	s_waitcnt vmcnt(1)
	v_lshlrev_b32_e32 v14, 16, v4
	v_lshrrev_b32_e32 v15, 16, v4
	v_and_b32_e32 v13, 0xffff0000, v4
	v_and_b32_e32 v19, 0xffff0000, v6
	v_lshlrev_b32_e32 v20, 16, v6
	v_lshrrev_b32_e32 v21, 16, v6
	v_lshrrev_b32_e32 v18, 16, v5
	v_cmp_lt_f32_e32 vcc_lo, v13, v14
	v_and_b32_e32 v16, 0xffff0000, v5
	v_lshlrev_b32_e32 v17, 16, v5
	v_cmp_lt_f32_e64 s1, v19, v20
	v_dual_cndmask_b32 v13, v15, v4 :: v_dual_cndmask_b32 v4, v4, v15
	s_delay_alu instid0(VALU_DEP_3) | instskip(NEXT) | instid1(VALU_DEP_3)
	v_cmp_lt_f32_e64 s0, v16, v17
	v_cndmask_b32_e64 v16, v21, v6, s1
	v_lshlrev_b32_e32 v12, 2, v0
	s_clause 0x1
	global_load_b128 v[0:3], v12, s[4:5]
	global_load_b96 v[7:9], v12, s[4:5] offset:16
	v_cndmask_b32_e64 v14, v18, v5, s0
	s_waitcnt vmcnt(1)
	v_dual_cndmask_b32 v15, v0, v1 :: v_dual_cndmask_b32 v0, v1, v0
	v_cndmask_b32_e64 v1, v5, v18, s0
	v_cndmask_b32_e64 v5, v3, v2, s0
	;; [unrolled: 1-line block ×4, first 2 shown]
	s_waitcnt vmcnt(0)
	v_cndmask_b32_e64 v6, v8, v7, s1
	v_lshlrev_b32_e32 v17, 16, v13
	v_lshlrev_b32_e32 v18, 16, v14
	;; [unrolled: 1-line block ×4, first 2 shown]
	v_cndmask_b32_e64 v7, v7, v8, s1
	v_lshlrev_b32_e32 v8, 16, v16
	s_delay_alu instid0(VALU_DEP_4) | instskip(NEXT) | instid1(VALU_DEP_4)
	v_cmp_lt_f32_e64 s0, v19, v17
	v_cmp_lt_f32_e64 s1, v20, v18
	s_delay_alu instid0(VALU_DEP_2) | instskip(NEXT) | instid1(VALU_DEP_2)
	v_cndmask_b32_e64 v19, v2, v0, s0
	v_cndmask_b32_e64 v18, v3, v14, s1
	;; [unrolled: 1-line block ×5, first 2 shown]
	v_lshlrev_b32_e32 v22, 16, v11
	v_cndmask_b32_e64 v17, v1, v13, s0
	v_cndmask_b32_e64 v1, v13, v1, s0
	v_lshlrev_b32_e32 v14, 16, v18
	v_cndmask_b32_e64 v5, v5, v7, s1
	v_cmp_lt_f32_e32 vcc_lo, v22, v8
	v_lshlrev_b32_e32 v21, 16, v4
	v_dual_cndmask_b32 v8, v11, v16 :: v_dual_cndmask_b32 v11, v16, v11
	v_cndmask_b32_e32 v16, v9, v6, vcc_lo
	s_delay_alu instid0(VALU_DEP_2) | instskip(NEXT) | instid1(VALU_DEP_1)
	v_dual_cndmask_b32 v6, v6, v9 :: v_dual_lshlrev_b32 v13, 16, v11
	v_cmp_lt_f32_e32 vcc_lo, v13, v14
	v_cndmask_b32_e32 v13, v11, v18, vcc_lo
	v_lshlrev_b32_e32 v9, 16, v8
	v_cndmask_b32_e32 v11, v18, v11, vcc_lo
	v_dual_cndmask_b32 v18, v6, v3 :: v_dual_cndmask_b32 v3, v3, v6
	s_delay_alu instid0(VALU_DEP_4) | instskip(NEXT) | instid1(VALU_DEP_1)
	v_lshlrev_b32_e32 v6, 16, v13
	v_cmp_lt_f32_e32 vcc_lo, v9, v6
	v_dual_cndmask_b32 v6, v13, v8 :: v_dual_lshlrev_b32 v7, 16, v1
	s_delay_alu instid0(VALU_DEP_1) | instskip(SKIP_1) | instid1(VALU_DEP_2)
	v_cmp_lt_f32_e64 s0, v7, v21
	v_cndmask_b32_e32 v8, v8, v13, vcc_lo
	v_cndmask_b32_e64 v7, v15, v0, s0
	v_lshlrev_b32_e32 v20, 16, v17
	v_cndmask_b32_e64 v0, v0, v15, s0
	v_cndmask_b32_e64 v15, v4, v1, s0
	v_lshlrev_b32_e32 v22, 16, v2
	v_cndmask_b32_e64 v1, v1, v4, s0
	s_delay_alu instid0(VALU_DEP_2) | instskip(NEXT) | instid1(VALU_DEP_2)
	v_cmp_lt_f32_e64 s1, v22, v20
	v_lshlrev_b32_e32 v20, 16, v1
	s_delay_alu instid0(VALU_DEP_2)
	v_cndmask_b32_e64 v14, v2, v17, s1
	v_cndmask_b32_e64 v2, v17, v2, s1
	;; [unrolled: 1-line block ×4, first 2 shown]
	v_lshlrev_b32_e32 v17, 16, v11
	v_lshlrev_b32_e32 v19, 16, v14
	s_delay_alu instid0(VALU_DEP_1) | instskip(SKIP_1) | instid1(VALU_DEP_2)
	v_cmp_lt_f32_e64 s0, v17, v19
	v_dual_cndmask_b32 v19, v16, v18 :: v_dual_cndmask_b32 v16, v18, v16
	v_cndmask_b32_e64 v13, v3, v4, s0
	v_lshlrev_b32_e32 v9, 16, v2
	v_cndmask_b32_e64 v17, v11, v14, s0
	v_lshlrev_b32_e32 v21, 16, v6
	v_cndmask_b32_e64 v11, v14, v11, s0
	v_cndmask_b32_e64 v3, v4, v3, s0
	v_cmp_lt_f32_e32 vcc_lo, v9, v20
	v_lshlrev_b32_e32 v4, 16, v17
	v_dual_cndmask_b32 v9, v2, v1 :: v_dual_lshlrev_b32 v14, 16, v8
	v_dual_cndmask_b32 v1, v1, v2 :: v_dual_lshlrev_b32 v18, 16, v15
	v_cndmask_b32_e32 v20, v5, v0, vcc_lo
	v_lshlrev_b32_e32 v2, 16, v11
	s_delay_alu instid0(VALU_DEP_4) | instskip(SKIP_3) | instid1(VALU_DEP_4)
	v_lshlrev_b32_e32 v22, 16, v9
	v_cndmask_b32_e32 v0, v0, v5, vcc_lo
	v_cmp_lt_f32_e32 vcc_lo, v21, v4
	v_lshlrev_b32_e32 v5, 16, v1
	v_cmp_lt_f32_e64 s0, v2, v22
	v_dual_cndmask_b32 v4, v16, v13 :: v_dual_cndmask_b32 v13, v13, v16
	v_cndmask_b32_e32 v16, v17, v6, vcc_lo
	v_cndmask_b32_e32 v6, v6, v17, vcc_lo
	v_cmp_lt_f32_e32 vcc_lo, v5, v18
	v_cndmask_b32_e64 v2, v9, v11, s0
	v_cndmask_b32_e64 v5, v3, v20, s0
	;; [unrolled: 1-line block ×4, first 2 shown]
	v_cndmask_b32_e32 v17, v7, v0, vcc_lo
	v_dual_cndmask_b32 v0, v0, v7 :: v_dual_lshlrev_b32 v11, 16, v16
	v_dual_cndmask_b32 v7, v1, v15 :: v_dual_lshlrev_b32 v20, 16, v6
	;; [unrolled: 1-line block ×3, first 2 shown]
	s_delay_alu instid0(VALU_DEP_2) | instskip(SKIP_1) | instid1(VALU_DEP_4)
	v_cmp_lt_f32_e32 vcc_lo, v14, v20
	v_lshlrev_b32_e32 v21, 16, v9
	v_dual_cndmask_b32 v14, v8, v6 :: v_dual_lshlrev_b32 v15, 16, v7
	v_cndmask_b32_e32 v8, v6, v8, vcc_lo
	s_delay_alu instid0(VALU_DEP_3)
	v_cmp_lt_f32_e64 s0, v11, v21
	v_cndmask_b32_e32 v6, v19, v4, vcc_lo
	v_cndmask_b32_e32 v4, v4, v19, vcc_lo
	v_cmp_lt_f32_e32 vcc_lo, v18, v15
	v_lshlrev_b32_e32 v19, 16, v1
	v_cndmask_b32_e64 v11, v16, v9, s0
	v_cndmask_b32_e64 v9, v9, v16, s0
	;; [unrolled: 1-line block ×3, first 2 shown]
	v_dual_cndmask_b32 v15, v2, v7 :: v_dual_cndmask_b32 v2, v7, v2
	v_cndmask_b32_e64 v13, v5, v13, s0
	v_lshlrev_b32_e32 v5, 16, v8
	v_lshlrev_b32_e32 v18, 16, v11
	s_delay_alu instid0(VALU_DEP_4) | instskip(SKIP_2) | instid1(VALU_DEP_4)
	v_dual_cndmask_b32 v20, v3, v0 :: v_dual_lshlrev_b32 v21, 16, v15
	v_dual_cndmask_b32 v0, v0, v3 :: v_dual_lshlrev_b32 v7, 16, v9
	v_lshlrev_b32_e32 v3, 16, v2
	v_cmp_lt_f32_e32 vcc_lo, v5, v18
	s_delay_alu instid0(VALU_DEP_3) | instskip(NEXT) | instid1(VALU_DEP_3)
	v_cmp_lt_f32_e64 s0, v7, v21
	v_cmp_lt_f32_e64 s1, v3, v19
	v_cndmask_b32_e32 v18, v8, v11, vcc_lo
	v_cndmask_b32_e32 v8, v11, v8, vcc_lo
	s_delay_alu instid0(VALU_DEP_4)
	v_cndmask_b32_e64 v7, v9, v15, s0
	v_cndmask_b32_e64 v15, v15, v9, s0
	;; [unrolled: 1-line block ×4, first 2 shown]
	v_perm_b32 v9, v18, v8, 0x5040100
	v_cndmask_b32_e64 v3, v13, v20, s0
	v_perm_b32 v8, v7, v15, 0x5040100
	v_cndmask_b32_e64 v2, v20, v13, s0
	;; [unrolled: 2-line block ×3, first 2 shown]
	v_cndmask_b32_e64 v0, v17, v0, s1
	v_cndmask_b32_e32 v5, v4, v16, vcc_lo
	v_cndmask_b32_e32 v4, v16, v4, vcc_lo
	s_clause 0x1
	global_store_b16 v10, v14, s[2:3] offset:12
	global_store_b96 v10, v[7:9], s[2:3]
	s_clause 0x1
	global_store_b128 v12, v[0:3], s[4:5]
	global_store_b96 v12, v[4:6], s[4:5] offset:16
	s_nop 0
	s_sendmsg sendmsg(MSG_DEALLOC_VGPRS)
	s_endpgm
	.section	.rodata,"a",@progbits
	.p2align	6, 0x0
	.amdhsa_kernel _Z16sort_keys_valuesILj256ELj7E12hip_bfloat16iN10test_utils4lessEEvPT1_PT2_T3_
		.amdhsa_group_segment_fixed_size 0
		.amdhsa_private_segment_fixed_size 0
		.amdhsa_kernarg_size 20
		.amdhsa_user_sgpr_count 15
		.amdhsa_user_sgpr_dispatch_ptr 0
		.amdhsa_user_sgpr_queue_ptr 0
		.amdhsa_user_sgpr_kernarg_segment_ptr 1
		.amdhsa_user_sgpr_dispatch_id 0
		.amdhsa_user_sgpr_private_segment_size 0
		.amdhsa_wavefront_size32 1
		.amdhsa_uses_dynamic_stack 0
		.amdhsa_enable_private_segment 0
		.amdhsa_system_sgpr_workgroup_id_x 1
		.amdhsa_system_sgpr_workgroup_id_y 0
		.amdhsa_system_sgpr_workgroup_id_z 0
		.amdhsa_system_sgpr_workgroup_info 0
		.amdhsa_system_vgpr_workitem_id 0
		.amdhsa_next_free_vgpr 23
		.amdhsa_next_free_sgpr 16
		.amdhsa_reserve_vcc 1
		.amdhsa_float_round_mode_32 0
		.amdhsa_float_round_mode_16_64 0
		.amdhsa_float_denorm_mode_32 3
		.amdhsa_float_denorm_mode_16_64 3
		.amdhsa_dx10_clamp 1
		.amdhsa_ieee_mode 1
		.amdhsa_fp16_overflow 0
		.amdhsa_workgroup_processor_mode 1
		.amdhsa_memory_ordered 1
		.amdhsa_forward_progress 0
		.amdhsa_shared_vgpr_count 0
		.amdhsa_exception_fp_ieee_invalid_op 0
		.amdhsa_exception_fp_denorm_src 0
		.amdhsa_exception_fp_ieee_div_zero 0
		.amdhsa_exception_fp_ieee_overflow 0
		.amdhsa_exception_fp_ieee_underflow 0
		.amdhsa_exception_fp_ieee_inexact 0
		.amdhsa_exception_int_div_zero 0
	.end_amdhsa_kernel
	.section	.text._Z16sort_keys_valuesILj256ELj7E12hip_bfloat16iN10test_utils4lessEEvPT1_PT2_T3_,"axG",@progbits,_Z16sort_keys_valuesILj256ELj7E12hip_bfloat16iN10test_utils4lessEEvPT1_PT2_T3_,comdat
.Lfunc_end14:
	.size	_Z16sort_keys_valuesILj256ELj7E12hip_bfloat16iN10test_utils4lessEEvPT1_PT2_T3_, .Lfunc_end14-_Z16sort_keys_valuesILj256ELj7E12hip_bfloat16iN10test_utils4lessEEvPT1_PT2_T3_
                                        ; -- End function
	.section	.AMDGPU.csdata,"",@progbits
; Kernel info:
; codeLenInByte = 1096
; NumSgprs: 18
; NumVgprs: 23
; ScratchSize: 0
; MemoryBound: 0
; FloatMode: 240
; IeeeMode: 1
; LDSByteSize: 0 bytes/workgroup (compile time only)
; SGPRBlocks: 2
; VGPRBlocks: 2
; NumSGPRsForWavesPerEU: 18
; NumVGPRsForWavesPerEU: 23
; Occupancy: 16
; WaveLimiterHint : 0
; COMPUTE_PGM_RSRC2:SCRATCH_EN: 0
; COMPUTE_PGM_RSRC2:USER_SGPR: 15
; COMPUTE_PGM_RSRC2:TRAP_HANDLER: 0
; COMPUTE_PGM_RSRC2:TGID_X_EN: 1
; COMPUTE_PGM_RSRC2:TGID_Y_EN: 0
; COMPUTE_PGM_RSRC2:TGID_Z_EN: 0
; COMPUTE_PGM_RSRC2:TIDIG_COMP_CNT: 0
	.section	.text._Z16sort_keys_valuesILj256ELj6E6__halfS0_N10test_utils4lessEEvPT1_PT2_T3_,"axG",@progbits,_Z16sort_keys_valuesILj256ELj6E6__halfS0_N10test_utils4lessEEvPT1_PT2_T3_,comdat
	.protected	_Z16sort_keys_valuesILj256ELj6E6__halfS0_N10test_utils4lessEEvPT1_PT2_T3_ ; -- Begin function _Z16sort_keys_valuesILj256ELj6E6__halfS0_N10test_utils4lessEEvPT1_PT2_T3_
	.globl	_Z16sort_keys_valuesILj256ELj6E6__halfS0_N10test_utils4lessEEvPT1_PT2_T3_
	.p2align	8
	.type	_Z16sort_keys_valuesILj256ELj6E6__halfS0_N10test_utils4lessEEvPT1_PT2_T3_,@function
_Z16sort_keys_valuesILj256ELj6E6__halfS0_N10test_utils4lessEEvPT1_PT2_T3_: ; @_Z16sort_keys_valuesILj256ELj6E6__halfS0_N10test_utils4lessEEvPT1_PT2_T3_
; %bb.0:
	s_load_b128 s[0:3], s[0:1], 0x0
	v_mul_u32_u24_e32 v0, 6, v0
	s_mov_b32 s5, 0
	s_mul_i32 s4, s15, 0x600
	s_delay_alu instid0(SALU_CYCLE_1) | instskip(NEXT) | instid1(VALU_DEP_1)
	s_lshl_b64 s[4:5], s[4:5], 1
	v_lshlrev_b32_e32 v6, 1, v0
	s_waitcnt lgkmcnt(0)
	s_add_u32 s0, s0, s4
	s_addc_u32 s1, s1, s5
	s_add_u32 s2, s2, s4
	s_addc_u32 s3, s3, s5
	s_clause 0x1
	global_load_b96 v[3:5], v6, s[0:1]
	global_load_b96 v[0:2], v6, s[2:3]
	s_mov_b32 s4, exec_lo
	s_waitcnt vmcnt(1)
	v_lshrrev_b32_e32 v9, 16, v3
	s_waitcnt vmcnt(0)
	v_lshrrev_b32_e32 v10, 16, v0
	s_delay_alu instid0(VALU_DEP_1)
	v_dual_mov_b32 v7, v9 :: v_dual_mov_b32 v8, v10
	v_cmpx_gt_f16_e32 v3, v9
; %bb.1:
	v_dual_mov_b32 v7, v3 :: v_dual_mov_b32 v8, v0
	v_dual_mov_b32 v3, v9 :: v_dual_mov_b32 v0, v10
; %bb.2:
	s_or_b32 exec_lo, exec_lo, s4
	v_lshrrev_b32_e32 v11, 16, v4
	v_lshrrev_b32_e32 v12, 16, v1
	s_mov_b32 s4, exec_lo
	s_delay_alu instid0(VALU_DEP_1)
	v_dual_mov_b32 v9, v11 :: v_dual_mov_b32 v10, v12
	v_cmpx_gt_f16_e32 v4, v11
; %bb.3:
	v_dual_mov_b32 v9, v4 :: v_dual_mov_b32 v4, v11
	v_dual_mov_b32 v10, v1 :: v_dual_mov_b32 v1, v12
; %bb.4:
	s_or_b32 exec_lo, exec_lo, s4
	v_lshrrev_b32_e32 v12, 16, v5
	v_lshrrev_b32_e32 v14, 16, v2
	s_mov_b32 s4, exec_lo
	s_delay_alu instid0(VALU_DEP_2) | instskip(NEXT) | instid1(VALU_DEP_2)
	v_mov_b32_e32 v11, v12
	v_mov_b32_e32 v13, v14
	v_cmpx_gt_f16_e32 v5, v12
; %bb.5:
	v_mov_b32_e32 v11, v5
	v_mov_b32_e32 v5, v12
	;; [unrolled: 1-line block ×4, first 2 shown]
; %bb.6:
	s_or_b32 exec_lo, exec_lo, s4
	v_mov_b32_e32 v12, v4
	v_mov_b32_e32 v14, v1
	s_mov_b32 s4, exec_lo
	v_cmpx_gt_f16_e32 v7, v4
	s_xor_b32 s4, exec_lo, s4
; %bb.7:
	v_dual_mov_b32 v12, v7 :: v_dual_mov_b32 v7, v4
	v_mov_b32_e32 v14, v8
	v_mov_b32_e32 v8, v1
; %bb.8:
	s_or_b32 exec_lo, exec_lo, s4
	v_mov_b32_e32 v4, v5
	v_mov_b32_e32 v16, v2
	s_mov_b32 s4, exec_lo
	v_cmpx_gt_f16_e32 v9, v5
; %bb.9:
	v_mov_b32_e32 v4, v9
	v_dual_mov_b32 v9, v5 :: v_dual_mov_b32 v16, v10
	v_mov_b32_e32 v10, v2
; %bb.10:
	s_or_b32 exec_lo, exec_lo, s4
	v_dual_mov_b32 v2, v7 :: v_dual_mov_b32 v17, v8
	s_mov_b32 s4, exec_lo
	v_cmpx_gt_f16_e32 v3, v7
; %bb.11:
	v_dual_mov_b32 v2, v3 :: v_dual_mov_b32 v17, v0
	v_dual_mov_b32 v3, v7 :: v_dual_mov_b32 v0, v8
; %bb.12:
	s_or_b32 exec_lo, exec_lo, s4
	v_dual_mov_b32 v5, v9 :: v_dual_mov_b32 v18, v10
	s_mov_b32 s4, exec_lo
	v_cmpx_gt_f16_e32 v12, v9
; %bb.13:
	v_dual_mov_b32 v5, v12 :: v_dual_mov_b32 v12, v9
	v_mov_b32_e32 v18, v14
	v_mov_b32_e32 v14, v10
; %bb.14:
	s_or_b32 exec_lo, exec_lo, s4
	v_mov_b32_e32 v1, v11
	v_mov_b32_e32 v15, v13
	s_mov_b32 s4, exec_lo
	v_cmpx_gt_f16_e32 v4, v11
; %bb.15:
	v_dual_mov_b32 v1, v4 :: v_dual_mov_b32 v4, v11
	v_dual_mov_b32 v15, v16 :: v_dual_mov_b32 v16, v13
; %bb.16:
	s_or_b32 exec_lo, exec_lo, s4
	v_dual_mov_b32 v9, v12 :: v_dual_mov_b32 v10, v14
	s_mov_b32 s4, exec_lo
	v_cmpx_gt_f16_e32 v2, v12
; %bb.17:
	v_dual_mov_b32 v9, v2 :: v_dual_mov_b32 v2, v12
	v_dual_mov_b32 v10, v17 :: v_dual_mov_b32 v17, v14
; %bb.18:
	s_or_b32 exec_lo, exec_lo, s4
	v_mov_b32_e32 v7, v4
	v_mov_b32_e32 v8, v16
	s_mov_b32 s4, exec_lo
	v_cmpx_gt_f16_e32 v5, v4
; %bb.19:
	v_dual_mov_b32 v7, v5 :: v_dual_mov_b32 v8, v18
	v_mov_b32_e32 v5, v4
	v_mov_b32_e32 v18, v16
; %bb.20:
	s_or_b32 exec_lo, exec_lo, s4
	v_dual_mov_b32 v12, v2 :: v_dual_mov_b32 v11, v17
	s_mov_b32 s4, exec_lo
	v_cmpx_gt_f16_e32 v3, v2
; %bb.21:
	v_dual_mov_b32 v12, v3 :: v_dual_mov_b32 v3, v2
	v_dual_mov_b32 v11, v0 :: v_dual_mov_b32 v0, v17
; %bb.22:
	s_or_b32 exec_lo, exec_lo, s4
	v_dual_mov_b32 v14, v5 :: v_dual_mov_b32 v13, v18
	s_mov_b32 s4, exec_lo
	v_cmpx_gt_f16_e32 v9, v5
; %bb.23:
	v_dual_mov_b32 v14, v9 :: v_dual_mov_b32 v13, v10
	v_dual_mov_b32 v9, v5 :: v_dual_mov_b32 v10, v18
	;; [unrolled: 8-line block ×3, first 2 shown]
; %bb.26:
	s_or_b32 exec_lo, exec_lo, s4
	v_add_co_u32 v4, s0, s0, v6
	s_delay_alu instid0(VALU_DEP_1) | instskip(SKIP_1) | instid1(VALU_DEP_1)
	v_add_co_ci_u32_e64 v5, null, s1, 0, s0
	v_add_co_u32 v1, s0, s2, v6
	v_add_co_ci_u32_e64 v2, null, s3, 0, s0
	v_dual_mov_b32 v15, v9 :: v_dual_mov_b32 v6, v10
	s_mov_b32 s0, exec_lo
	v_cmpx_gt_f16_e32 v12, v9
; %bb.27:
	v_dual_mov_b32 v15, v12 :: v_dual_mov_b32 v12, v9
	v_dual_mov_b32 v6, v11 :: v_dual_mov_b32 v11, v10
; %bb.28:
	s_or_b32 exec_lo, exec_lo, s0
	v_dual_mov_b32 v10, v7 :: v_dual_mov_b32 v9, v8
	s_mov_b32 s0, exec_lo
	v_cmpx_gt_f16_e32 v14, v7
; %bb.29:
	v_dual_mov_b32 v10, v14 :: v_dual_mov_b32 v9, v13
	v_dual_mov_b32 v14, v7 :: v_dual_mov_b32 v13, v8
; %bb.30:
	s_or_b32 exec_lo, exec_lo, s0
	s_delay_alu instid0(VALU_DEP_2) | instskip(NEXT) | instid1(VALU_DEP_2)
	v_perm_b32 v19, v17, v10, 0x5040100
	v_perm_b32 v18, v14, v15, 0x5040100
	;; [unrolled: 1-line block ×6, first 2 shown]
	global_store_b96 v[4:5], v[17:19], off
	global_store_b96 v[1:2], v[6:8], off
	s_nop 0
	s_sendmsg sendmsg(MSG_DEALLOC_VGPRS)
	s_endpgm
	.section	.rodata,"a",@progbits
	.p2align	6, 0x0
	.amdhsa_kernel _Z16sort_keys_valuesILj256ELj6E6__halfS0_N10test_utils4lessEEvPT1_PT2_T3_
		.amdhsa_group_segment_fixed_size 0
		.amdhsa_private_segment_fixed_size 0
		.amdhsa_kernarg_size 20
		.amdhsa_user_sgpr_count 15
		.amdhsa_user_sgpr_dispatch_ptr 0
		.amdhsa_user_sgpr_queue_ptr 0
		.amdhsa_user_sgpr_kernarg_segment_ptr 1
		.amdhsa_user_sgpr_dispatch_id 0
		.amdhsa_user_sgpr_private_segment_size 0
		.amdhsa_wavefront_size32 1
		.amdhsa_uses_dynamic_stack 0
		.amdhsa_enable_private_segment 0
		.amdhsa_system_sgpr_workgroup_id_x 1
		.amdhsa_system_sgpr_workgroup_id_y 0
		.amdhsa_system_sgpr_workgroup_id_z 0
		.amdhsa_system_sgpr_workgroup_info 0
		.amdhsa_system_vgpr_workitem_id 0
		.amdhsa_next_free_vgpr 20
		.amdhsa_next_free_sgpr 16
		.amdhsa_reserve_vcc 0
		.amdhsa_float_round_mode_32 0
		.amdhsa_float_round_mode_16_64 0
		.amdhsa_float_denorm_mode_32 3
		.amdhsa_float_denorm_mode_16_64 3
		.amdhsa_dx10_clamp 1
		.amdhsa_ieee_mode 1
		.amdhsa_fp16_overflow 0
		.amdhsa_workgroup_processor_mode 1
		.amdhsa_memory_ordered 1
		.amdhsa_forward_progress 0
		.amdhsa_shared_vgpr_count 0
		.amdhsa_exception_fp_ieee_invalid_op 0
		.amdhsa_exception_fp_denorm_src 0
		.amdhsa_exception_fp_ieee_div_zero 0
		.amdhsa_exception_fp_ieee_overflow 0
		.amdhsa_exception_fp_ieee_underflow 0
		.amdhsa_exception_fp_ieee_inexact 0
		.amdhsa_exception_int_div_zero 0
	.end_amdhsa_kernel
	.section	.text._Z16sort_keys_valuesILj256ELj6E6__halfS0_N10test_utils4lessEEvPT1_PT2_T3_,"axG",@progbits,_Z16sort_keys_valuesILj256ELj6E6__halfS0_N10test_utils4lessEEvPT1_PT2_T3_,comdat
.Lfunc_end15:
	.size	_Z16sort_keys_valuesILj256ELj6E6__halfS0_N10test_utils4lessEEvPT1_PT2_T3_, .Lfunc_end15-_Z16sort_keys_valuesILj256ELj6E6__halfS0_N10test_utils4lessEEvPT1_PT2_T3_
                                        ; -- End function
	.section	.AMDGPU.csdata,"",@progbits
; Kernel info:
; codeLenInByte = 804
; NumSgprs: 16
; NumVgprs: 20
; ScratchSize: 0
; MemoryBound: 0
; FloatMode: 240
; IeeeMode: 1
; LDSByteSize: 0 bytes/workgroup (compile time only)
; SGPRBlocks: 1
; VGPRBlocks: 2
; NumSGPRsForWavesPerEU: 16
; NumVGPRsForWavesPerEU: 20
; Occupancy: 16
; WaveLimiterHint : 0
; COMPUTE_PGM_RSRC2:SCRATCH_EN: 0
; COMPUTE_PGM_RSRC2:USER_SGPR: 15
; COMPUTE_PGM_RSRC2:TRAP_HANDLER: 0
; COMPUTE_PGM_RSRC2:TGID_X_EN: 1
; COMPUTE_PGM_RSRC2:TGID_Y_EN: 0
; COMPUTE_PGM_RSRC2:TGID_Z_EN: 0
; COMPUTE_PGM_RSRC2:TIDIG_COMP_CNT: 0
	.section	.text._Z16sort_keys_valuesILj256ELj7E12hip_bfloat16S0_N10test_utils4lessEEvPT1_PT2_T3_,"axG",@progbits,_Z16sort_keys_valuesILj256ELj7E12hip_bfloat16S0_N10test_utils4lessEEvPT1_PT2_T3_,comdat
	.protected	_Z16sort_keys_valuesILj256ELj7E12hip_bfloat16S0_N10test_utils4lessEEvPT1_PT2_T3_ ; -- Begin function _Z16sort_keys_valuesILj256ELj7E12hip_bfloat16S0_N10test_utils4lessEEvPT1_PT2_T3_
	.globl	_Z16sort_keys_valuesILj256ELj7E12hip_bfloat16S0_N10test_utils4lessEEvPT1_PT2_T3_
	.p2align	8
	.type	_Z16sort_keys_valuesILj256ELj7E12hip_bfloat16S0_N10test_utils4lessEEvPT1_PT2_T3_,@function
_Z16sort_keys_valuesILj256ELj7E12hip_bfloat16S0_N10test_utils4lessEEvPT1_PT2_T3_: ; @_Z16sort_keys_valuesILj256ELj7E12hip_bfloat16S0_N10test_utils4lessEEvPT1_PT2_T3_
; %bb.0:
	s_load_b128 s[4:7], s[0:1], 0x0
	v_mul_u32_u24_e32 v0, 7, v0
	s_mov_b32 s1, 0
	s_mul_i32 s0, s15, 0x700
	s_delay_alu instid0(SALU_CYCLE_1) | instskip(NEXT) | instid1(VALU_DEP_1)
	s_lshl_b64 s[0:1], s[0:1], 1
	v_lshlrev_b32_e32 v6, 1, v0
	s_waitcnt lgkmcnt(0)
	s_add_u32 s2, s4, s0
	s_addc_u32 s3, s5, s1
	s_add_u32 s0, s6, s0
	global_load_b96 v[3:5], v6, s[2:3]
	s_addc_u32 s1, s7, s1
	s_waitcnt vmcnt(0)
	v_and_b32_e32 v7, 0xffff0000, v3
	v_lshlrev_b32_e32 v8, 16, v3
	v_lshrrev_b32_e32 v10, 16, v3
	s_delay_alu instid0(VALU_DEP_2) | instskip(NEXT) | instid1(VALU_DEP_2)
	v_cmp_lt_f32_e32 vcc_lo, v7, v8
	v_mov_b32_e32 v7, v10
	s_clause 0x2
	global_load_b96 v[0:2], v6, s[0:1]
	global_load_d16_b16 v13, v6, s[2:3] offset:12
	global_load_d16_b16 v11, v6, s[0:1] offset:12
	s_waitcnt vmcnt(2)
	v_lshrrev_b32_e32 v9, 16, v0
	s_delay_alu instid0(VALU_DEP_1)
	v_mov_b32_e32 v8, v9
	s_and_saveexec_b32 s4, vcc_lo
; %bb.1:
	v_dual_mov_b32 v7, v3 :: v_dual_mov_b32 v8, v0
	v_dual_mov_b32 v3, v10 :: v_dual_mov_b32 v0, v9
; %bb.2:
	s_or_b32 exec_lo, exec_lo, s4
	v_lshrrev_b32_e32 v14, 16, v4
	v_lshlrev_b32_e32 v10, 16, v4
	v_lshrrev_b32_e32 v12, 16, v1
	v_and_b32_e32 v9, 0xffff0000, v4
	s_delay_alu instid0(VALU_DEP_1) | instskip(NEXT) | instid1(VALU_DEP_3)
	v_cmp_lt_f32_e32 vcc_lo, v9, v10
	v_dual_mov_b32 v10, v12 :: v_dual_mov_b32 v9, v14
	s_and_saveexec_b32 s4, vcc_lo
; %bb.3:
	v_dual_mov_b32 v9, v4 :: v_dual_mov_b32 v4, v14
	v_dual_mov_b32 v10, v1 :: v_dual_mov_b32 v1, v12
; %bb.4:
	s_or_b32 exec_lo, exec_lo, s4
	v_lshrrev_b32_e32 v16, 16, v5
	v_lshlrev_b32_e32 v15, 16, v5
	v_lshrrev_b32_e32 v12, 16, v2
	v_and_b32_e32 v14, 0xffff0000, v5
	s_delay_alu instid0(VALU_DEP_1) | instskip(NEXT) | instid1(VALU_DEP_3)
	v_cmp_lt_f32_e32 vcc_lo, v14, v15
	v_mov_b32_e32 v15, v12
	v_mov_b32_e32 v14, v16
	s_and_saveexec_b32 s4, vcc_lo
; %bb.5:
	v_dual_mov_b32 v14, v5 :: v_dual_mov_b32 v5, v16
	v_dual_mov_b32 v15, v2 :: v_dual_mov_b32 v2, v12
; %bb.6:
	s_or_b32 exec_lo, exec_lo, s4
	v_lshlrev_b32_e32 v16, 16, v4
	v_dual_mov_b32 v12, v4 :: v_dual_lshlrev_b32 v17, 16, v7
	s_delay_alu instid0(VALU_DEP_1) | instskip(SKIP_2) | instid1(SALU_CYCLE_1)
	v_cmp_lt_f32_e32 vcc_lo, v16, v17
	v_mov_b32_e32 v16, v1
	s_and_saveexec_b32 s4, vcc_lo
	s_xor_b32 s4, exec_lo, s4
; %bb.7:
	v_dual_mov_b32 v12, v7 :: v_dual_mov_b32 v7, v4
	v_mov_b32_e32 v16, v8
	v_mov_b32_e32 v8, v1
; %bb.8:
	s_or_b32 exec_lo, exec_lo, s4
	v_dual_mov_b32 v1, v5 :: v_dual_lshlrev_b32 v4, 16, v5
	v_lshlrev_b32_e32 v17, 16, v9
	s_delay_alu instid0(VALU_DEP_1)
	v_cmp_lt_f32_e32 vcc_lo, v4, v17
	v_mov_b32_e32 v17, v2
	s_and_saveexec_b32 s4, vcc_lo
; %bb.9:
	v_mov_b32_e32 v1, v9
	v_mov_b32_e32 v9, v5
	;; [unrolled: 1-line block ×4, first 2 shown]
; %bb.10:
	s_or_b32 exec_lo, exec_lo, s4
	s_waitcnt vmcnt(1)
	v_lshlrev_b32_e32 v4, 16, v13
	v_dual_mov_b32 v2, v13 :: v_dual_lshlrev_b32 v5, 16, v14
	s_waitcnt vmcnt(0)
	v_mov_b32_e32 v18, v11
	s_mov_b32 s4, exec_lo
	s_delay_alu instid0(VALU_DEP_2)
	v_cmpx_lt_f32_e32 v4, v5
; %bb.11:
	v_mov_b32_e32 v2, v14
	v_mov_b32_e32 v14, v13
	;; [unrolled: 1-line block ×4, first 2 shown]
; %bb.12:
	s_or_b32 exec_lo, exec_lo, s4
	v_dual_mov_b32 v4, v7 :: v_dual_lshlrev_b32 v5, 16, v7
	v_lshlrev_b32_e32 v11, 16, v3
	v_mov_b32_e32 v19, v8
	s_mov_b32 s4, exec_lo
	s_delay_alu instid0(VALU_DEP_2)
	v_cmpx_lt_f32_e32 v5, v11
; %bb.13:
	v_dual_mov_b32 v4, v3 :: v_dual_mov_b32 v19, v0
	v_dual_mov_b32 v3, v7 :: v_dual_mov_b32 v0, v8
; %bb.14:
	s_or_b32 exec_lo, exec_lo, s4
	v_lshlrev_b32_e32 v7, 16, v9
	v_dual_mov_b32 v5, v9 :: v_dual_lshlrev_b32 v8, 16, v12
	s_delay_alu instid0(VALU_DEP_1)
	v_cmp_lt_f32_e32 vcc_lo, v7, v8
	v_mov_b32_e32 v7, v10
	s_and_saveexec_b32 s4, vcc_lo
; %bb.15:
	v_dual_mov_b32 v5, v12 :: v_dual_mov_b32 v12, v9
	v_dual_mov_b32 v7, v16 :: v_dual_mov_b32 v16, v10
; %bb.16:
	s_or_b32 exec_lo, exec_lo, s4
	v_dual_mov_b32 v11, v14 :: v_dual_lshlrev_b32 v8, 16, v14
	v_dual_mov_b32 v20, v15 :: v_dual_lshlrev_b32 v9, 16, v1
	s_mov_b32 s4, exec_lo
	s_delay_alu instid0(VALU_DEP_1)
	v_cmpx_lt_f32_e32 v8, v9
; %bb.17:
	v_mov_b32_e32 v11, v1
	v_dual_mov_b32 v1, v14 :: v_dual_mov_b32 v20, v17
	v_mov_b32_e32 v17, v15
; %bb.18:
	s_or_b32 exec_lo, exec_lo, s4
	v_dual_mov_b32 v13, v12 :: v_dual_lshlrev_b32 v8, 16, v12
	v_lshlrev_b32_e32 v9, 16, v4
	v_mov_b32_e32 v15, v16
	s_mov_b32 s4, exec_lo
	s_delay_alu instid0(VALU_DEP_2)
	v_cmpx_lt_f32_e32 v8, v9
; %bb.19:
	v_mov_b32_e32 v13, v4
	v_dual_mov_b32 v4, v12 :: v_dual_mov_b32 v15, v19
	v_mov_b32_e32 v19, v16
; %bb.20:
	s_or_b32 exec_lo, exec_lo, s4
	v_lshlrev_b32_e32 v8, 16, v1
	v_dual_mov_b32 v12, v1 :: v_dual_lshlrev_b32 v9, 16, v5
	v_mov_b32_e32 v16, v17
	s_mov_b32 s4, exec_lo
	s_delay_alu instid0(VALU_DEP_2)
	v_cmpx_lt_f32_e32 v8, v9
; %bb.21:
	v_mov_b32_e32 v12, v5
	v_dual_mov_b32 v5, v1 :: v_dual_mov_b32 v16, v7
	v_mov_b32_e32 v7, v17
; %bb.22:
	s_or_b32 exec_lo, exec_lo, s4
	v_dual_mov_b32 v1, v2 :: v_dual_lshlrev_b32 v8, 16, v2
	v_dual_mov_b32 v14, v18 :: v_dual_lshlrev_b32 v9, 16, v11
	s_mov_b32 s4, exec_lo
	s_delay_alu instid0(VALU_DEP_1)
	v_cmpx_lt_f32_e32 v8, v9
; %bb.23:
	v_dual_mov_b32 v1, v11 :: v_dual_mov_b32 v14, v20
	v_mov_b32_e32 v11, v2
	v_mov_b32_e32 v20, v18
; %bb.24:
	s_or_b32 exec_lo, exec_lo, s4
	v_dual_mov_b32 v17, v19 :: v_dual_lshlrev_b32 v8, 16, v4
	v_dual_mov_b32 v2, v4 :: v_dual_lshlrev_b32 v9, 16, v3
	s_mov_b32 s4, exec_lo
	s_delay_alu instid0(VALU_DEP_1)
	v_cmpx_lt_f32_e32 v8, v9
; %bb.25:
	v_dual_mov_b32 v2, v3 :: v_dual_mov_b32 v3, v4
	v_dual_mov_b32 v17, v0 :: v_dual_mov_b32 v0, v19
; %bb.26:
	s_or_b32 exec_lo, exec_lo, s4
	v_dual_mov_b32 v9, v5 :: v_dual_lshlrev_b32 v4, 16, v5
	v_lshlrev_b32_e32 v8, 16, v13
	v_mov_b32_e32 v10, v7
	s_mov_b32 s4, exec_lo
	s_delay_alu instid0(VALU_DEP_2)
	v_cmpx_lt_f32_e32 v4, v8
; %bb.27:
	v_dual_mov_b32 v9, v13 :: v_dual_mov_b32 v10, v15
	v_mov_b32_e32 v13, v5
	v_mov_b32_e32 v15, v7
; %bb.28:
	s_or_b32 exec_lo, exec_lo, s4
	v_dual_mov_b32 v7, v11 :: v_dual_lshlrev_b32 v4, 16, v11
	v_dual_mov_b32 v8, v20 :: v_dual_lshlrev_b32 v5, 16, v12
	s_mov_b32 s4, exec_lo
	s_delay_alu instid0(VALU_DEP_1)
	v_cmpx_lt_f32_e32 v4, v5
; %bb.29:
	v_dual_mov_b32 v7, v12 :: v_dual_mov_b32 v12, v11
	v_mov_b32_e32 v8, v16
	v_mov_b32_e32 v16, v20
; %bb.30:
	s_or_b32 exec_lo, exec_lo, s4
	v_dual_mov_b32 v11, v15 :: v_dual_lshlrev_b32 v4, 16, v13
	v_dual_mov_b32 v18, v13 :: v_dual_lshlrev_b32 v5, 16, v2
	s_mov_b32 s4, exec_lo
	s_delay_alu instid0(VALU_DEP_1)
	v_cmpx_lt_f32_e32 v4, v5
; %bb.31:
	v_dual_mov_b32 v18, v2 :: v_dual_mov_b32 v11, v17
	v_dual_mov_b32 v2, v13 :: v_dual_mov_b32 v17, v15
; %bb.32:
	s_or_b32 exec_lo, exec_lo, s4
	v_dual_mov_b32 v15, v12 :: v_dual_lshlrev_b32 v4, 16, v12
	v_lshlrev_b32_e32 v5, 16, v9
	v_mov_b32_e32 v13, v16
	s_mov_b32 s4, exec_lo
	s_delay_alu instid0(VALU_DEP_2)
	v_cmpx_lt_f32_e32 v4, v5
; %bb.33:
	v_mov_b32_e32 v15, v9
	v_mov_b32_e32 v9, v12
	v_dual_mov_b32 v13, v10 :: v_dual_mov_b32 v10, v16
; %bb.34:
	s_or_b32 exec_lo, exec_lo, s4
	v_lshlrev_b32_e32 v4, 16, v1
	v_dual_mov_b32 v12, v1 :: v_dual_lshlrev_b32 v5, 16, v7
	v_mov_b32_e32 v16, v14
	s_mov_b32 s4, exec_lo
	s_delay_alu instid0(VALU_DEP_2)
	v_cmpx_lt_f32_e32 v4, v5
; %bb.35:
	v_dual_mov_b32 v12, v7 :: v_dual_mov_b32 v7, v1
	v_mov_b32_e32 v16, v8
	v_mov_b32_e32 v8, v14
; %bb.36:
	s_or_b32 exec_lo, exec_lo, s4
	v_dual_mov_b32 v14, v17 :: v_dual_lshlrev_b32 v1, 16, v2
	v_dual_mov_b32 v19, v2 :: v_dual_lshlrev_b32 v4, 16, v3
	s_mov_b32 s4, exec_lo
	s_delay_alu instid0(VALU_DEP_1)
	v_cmpx_lt_f32_e32 v1, v4
; %bb.37:
	v_dual_mov_b32 v19, v3 :: v_dual_mov_b32 v14, v0
	v_dual_mov_b32 v3, v2 :: v_dual_mov_b32 v0, v17
; %bb.38:
	s_or_b32 exec_lo, exec_lo, s4
	v_lshlrev_b32_e32 v17, 16, v9
	v_lshlrev_b32_e32 v20, 16, v18
	v_add_co_u32 v1, s2, s2, v6
	v_add_co_u32 v4, s0, s0, v6
	v_add_co_ci_u32_e64 v2, null, s3, 0, s2
	v_add_co_ci_u32_e64 v5, null, s1, 0, s0
	v_mov_b32_e32 v6, v10
	v_cmp_lt_f32_e32 vcc_lo, v17, v20
	v_mov_b32_e32 v17, v9
	s_and_saveexec_b32 s0, vcc_lo
; %bb.39:
	v_dual_mov_b32 v17, v18 :: v_dual_mov_b32 v18, v9
	v_dual_mov_b32 v6, v11 :: v_dual_mov_b32 v11, v10
; %bb.40:
	s_or_b32 exec_lo, exec_lo, s0
	v_dual_mov_b32 v10, v7 :: v_dual_lshlrev_b32 v9, 16, v7
	v_lshlrev_b32_e32 v20, 16, v15
	s_delay_alu instid0(VALU_DEP_1)
	v_cmp_lt_f32_e32 vcc_lo, v9, v20
	v_mov_b32_e32 v9, v8
	s_and_saveexec_b32 s0, vcc_lo
; %bb.41:
	v_dual_mov_b32 v10, v15 :: v_dual_mov_b32 v9, v13
	v_mov_b32_e32 v15, v7
	v_mov_b32_e32 v13, v8
; %bb.42:
	s_or_b32 exec_lo, exec_lo, s0
	v_perm_b32 v18, v17, v18, 0x5040100
	v_perm_b32 v17, v19, v3, 0x5040100
	;; [unrolled: 1-line block ×6, first 2 shown]
	s_clause 0x1
	global_store_b16 v[1:2], v12, off offset:12
	global_store_b96 v[1:2], v[17:19], off
	s_clause 0x1
	global_store_b16 v[4:5], v16, off offset:12
	global_store_b96 v[4:5], v[6:8], off
	s_nop 0
	s_sendmsg sendmsg(MSG_DEALLOC_VGPRS)
	s_endpgm
	.section	.rodata,"a",@progbits
	.p2align	6, 0x0
	.amdhsa_kernel _Z16sort_keys_valuesILj256ELj7E12hip_bfloat16S0_N10test_utils4lessEEvPT1_PT2_T3_
		.amdhsa_group_segment_fixed_size 0
		.amdhsa_private_segment_fixed_size 0
		.amdhsa_kernarg_size 20
		.amdhsa_user_sgpr_count 15
		.amdhsa_user_sgpr_dispatch_ptr 0
		.amdhsa_user_sgpr_queue_ptr 0
		.amdhsa_user_sgpr_kernarg_segment_ptr 1
		.amdhsa_user_sgpr_dispatch_id 0
		.amdhsa_user_sgpr_private_segment_size 0
		.amdhsa_wavefront_size32 1
		.amdhsa_uses_dynamic_stack 0
		.amdhsa_enable_private_segment 0
		.amdhsa_system_sgpr_workgroup_id_x 1
		.amdhsa_system_sgpr_workgroup_id_y 0
		.amdhsa_system_sgpr_workgroup_id_z 0
		.amdhsa_system_sgpr_workgroup_info 0
		.amdhsa_system_vgpr_workitem_id 0
		.amdhsa_next_free_vgpr 21
		.amdhsa_next_free_sgpr 16
		.amdhsa_reserve_vcc 1
		.amdhsa_float_round_mode_32 0
		.amdhsa_float_round_mode_16_64 0
		.amdhsa_float_denorm_mode_32 3
		.amdhsa_float_denorm_mode_16_64 3
		.amdhsa_dx10_clamp 1
		.amdhsa_ieee_mode 1
		.amdhsa_fp16_overflow 0
		.amdhsa_workgroup_processor_mode 1
		.amdhsa_memory_ordered 1
		.amdhsa_forward_progress 0
		.amdhsa_shared_vgpr_count 0
		.amdhsa_exception_fp_ieee_invalid_op 0
		.amdhsa_exception_fp_denorm_src 0
		.amdhsa_exception_fp_ieee_div_zero 0
		.amdhsa_exception_fp_ieee_overflow 0
		.amdhsa_exception_fp_ieee_underflow 0
		.amdhsa_exception_fp_ieee_inexact 0
		.amdhsa_exception_int_div_zero 0
	.end_amdhsa_kernel
	.section	.text._Z16sort_keys_valuesILj256ELj7E12hip_bfloat16S0_N10test_utils4lessEEvPT1_PT2_T3_,"axG",@progbits,_Z16sort_keys_valuesILj256ELj7E12hip_bfloat16S0_N10test_utils4lessEEvPT1_PT2_T3_,comdat
.Lfunc_end16:
	.size	_Z16sort_keys_valuesILj256ELj7E12hip_bfloat16S0_N10test_utils4lessEEvPT1_PT2_T3_, .Lfunc_end16-_Z16sort_keys_valuesILj256ELj7E12hip_bfloat16S0_N10test_utils4lessEEvPT1_PT2_T3_
                                        ; -- End function
	.section	.AMDGPU.csdata,"",@progbits
; Kernel info:
; codeLenInByte = 1312
; NumSgprs: 18
; NumVgprs: 21
; ScratchSize: 0
; MemoryBound: 0
; FloatMode: 240
; IeeeMode: 1
; LDSByteSize: 0 bytes/workgroup (compile time only)
; SGPRBlocks: 2
; VGPRBlocks: 2
; NumSGPRsForWavesPerEU: 18
; NumVGPRsForWavesPerEU: 21
; Occupancy: 16
; WaveLimiterHint : 0
; COMPUTE_PGM_RSRC2:SCRATCH_EN: 0
; COMPUTE_PGM_RSRC2:USER_SGPR: 15
; COMPUTE_PGM_RSRC2:TRAP_HANDLER: 0
; COMPUTE_PGM_RSRC2:TGID_X_EN: 1
; COMPUTE_PGM_RSRC2:TGID_Y_EN: 0
; COMPUTE_PGM_RSRC2:TGID_Z_EN: 0
; COMPUTE_PGM_RSRC2:TIDIG_COMP_CNT: 0
	.section	.text._Z16sort_keys_valuesILj256ELj4EN10test_utils16custom_test_typeIiEENS1_IcEENS0_4lessEEvPT1_PT2_T3_,"axG",@progbits,_Z16sort_keys_valuesILj256ELj4EN10test_utils16custom_test_typeIiEENS1_IcEENS0_4lessEEvPT1_PT2_T3_,comdat
	.protected	_Z16sort_keys_valuesILj256ELj4EN10test_utils16custom_test_typeIiEENS1_IcEENS0_4lessEEvPT1_PT2_T3_ ; -- Begin function _Z16sort_keys_valuesILj256ELj4EN10test_utils16custom_test_typeIiEENS1_IcEENS0_4lessEEvPT1_PT2_T3_
	.globl	_Z16sort_keys_valuesILj256ELj4EN10test_utils16custom_test_typeIiEENS1_IcEENS0_4lessEEvPT1_PT2_T3_
	.p2align	8
	.type	_Z16sort_keys_valuesILj256ELj4EN10test_utils16custom_test_typeIiEENS1_IcEENS0_4lessEEvPT1_PT2_T3_,@function
_Z16sort_keys_valuesILj256ELj4EN10test_utils16custom_test_typeIiEENS1_IcEENS0_4lessEEvPT1_PT2_T3_: ; @_Z16sort_keys_valuesILj256ELj4EN10test_utils16custom_test_typeIiEENS1_IcEENS0_4lessEEvPT1_PT2_T3_
; %bb.0:
	s_load_b128 s[0:3], s[0:1], 0x0
	s_mov_b32 s7, 0
	s_lshl_b32 s6, s15, 10
	v_lshlrev_b32_e32 v21, 5, v0
	s_lshl_b64 s[4:5], s[6:7], 3
	s_waitcnt lgkmcnt(0)
	s_add_u32 s4, s0, s4
	s_addc_u32 s5, s1, s5
	s_lshl_b64 s[0:1], s[6:7], 1
	global_load_b128 v[6:9], v21, s[4:5]
	v_lshlrev_b32_e32 v22, 3, v0
	s_add_u32 s2, s2, s0
	s_addc_u32 s3, s3, s1
	s_waitcnt vmcnt(0)
	v_dual_mov_b32 v2, v8 :: v_dual_mov_b32 v3, v9
	global_load_b64 v[14:15], v22, s[2:3]
	global_load_b128 v[10:13], v21, s[4:5] offset:16
	v_cmp_eq_u32_e64 s0, v8, v6
	v_cmp_lt_i32_e64 s1, v9, v7
	v_cmp_lt_i32_e32 vcc_lo, v8, v6
	v_dual_mov_b32 v17, v7 :: v_dual_mov_b32 v16, v6
	s_delay_alu instid0(VALU_DEP_3) | instskip(NEXT) | instid1(SALU_CYCLE_1)
	s_and_b32 s0, s0, s1
	s_or_b32 s1, vcc_lo, s0
	s_waitcnt vmcnt(1)
	v_lshrrev_b32_e32 v0, 16, v14
	v_lshrrev_b32_e32 v1, 24, v14
	;; [unrolled: 1-line block ×3, first 2 shown]
	s_delay_alu instid0(VALU_DEP_2)
	v_dual_mov_b32 v25, v0 :: v_dual_mov_b32 v26, v1
	s_and_saveexec_b32 s0, s1
; %bb.1:
	v_dual_mov_b32 v2, v6 :: v_dual_mov_b32 v3, v7
	v_dual_mov_b32 v17, v9 :: v_dual_mov_b32 v16, v8
	;; [unrolled: 1-line block ×3, first 2 shown]
	v_mov_b32_e32 v14, v0
	v_mov_b32_e32 v20, v1
	;; [unrolled: 1-line block ×3, first 2 shown]
; %bb.2:
	s_or_b32 exec_lo, exec_lo, s0
	v_lshrrev_b32_e32 v1, 16, v15
	v_lshrrev_b32_e32 v6, 24, v15
	s_waitcnt vmcnt(0)
	v_cmp_eq_u32_e64 s0, v12, v10
	v_cmp_lt_i32_e64 s1, v13, v11
	v_cmp_lt_i32_e32 vcc_lo, v12, v10
	v_lshrrev_b32_e32 v0, 8, v15
	v_dual_mov_b32 v19, v13 :: v_dual_mov_b32 v18, v12
	v_dual_mov_b32 v4, v10 :: v_dual_mov_b32 v5, v11
	;; [unrolled: 1-line block ×3, first 2 shown]
	s_and_b32 s0, s0, s1
	s_delay_alu instid0(SALU_CYCLE_1) | instskip(NEXT) | instid1(SALU_CYCLE_1)
	s_or_b32 s1, vcc_lo, s0
	s_and_saveexec_b32 s0, s1
; %bb.3:
	v_dual_mov_b32 v19, v11 :: v_dual_mov_b32 v18, v10
	v_dual_mov_b32 v4, v12 :: v_dual_mov_b32 v5, v13
	;; [unrolled: 1-line block ×5, first 2 shown]
; %bb.4:
	s_or_b32 exec_lo, exec_lo, s0
	s_delay_alu instid0(VALU_DEP_1) | instskip(NEXT) | instid1(VALU_DEP_2)
	v_cmp_eq_u32_e64 s0, v10, v8
	v_cmp_lt_i32_e64 s1, v11, v3
	v_cmp_lt_i32_e32 vcc_lo, v10, v8
	v_dual_mov_b32 v13, v15 :: v_dual_mov_b32 v12, v10
	v_mov_b32_e32 v23, v0
	v_mov_b32_e32 v9, v3
	s_and_b32 s0, s0, s1
	s_delay_alu instid0(SALU_CYCLE_1) | instskip(NEXT) | instid1(SALU_CYCLE_1)
	s_or_b32 s0, vcc_lo, s0
	s_and_saveexec_b32 s1, s0
	s_delay_alu instid0(SALU_CYCLE_1)
	s_xor_b32 s0, exec_lo, s1
; %bb.5:
	v_dual_mov_b32 v12, v2 :: v_dual_mov_b32 v5, v3
	v_mov_b32_e32 v4, v2
	v_dual_mov_b32 v2, v10 :: v_dual_mov_b32 v13, v25
	v_mov_b32_e32 v3, v11
	v_dual_mov_b32 v23, v26 :: v_dual_mov_b32 v26, v0
	v_dual_mov_b32 v25, v15 :: v_dual_mov_b32 v8, v10
	v_mov_b32_e32 v9, v11
; %bb.6:
	s_or_b32 exec_lo, exec_lo, s0
	s_delay_alu instid0(VALU_DEP_2) | instskip(NEXT) | instid1(VALU_DEP_2)
	v_cmp_eq_u32_e32 vcc_lo, v8, v16
	v_cmp_lt_i32_e64 s0, v9, v17
	v_cmp_lt_i32_e64 s1, v8, v16
	v_dual_mov_b32 v0, v16 :: v_dual_mov_b32 v1, v17
	v_dual_mov_b32 v11, v25 :: v_dual_mov_b32 v24, v26
	s_delay_alu instid0(VALU_DEP_4)
	s_and_b32 s0, vcc_lo, s0
	s_delay_alu instid0(VALU_DEP_3) | instid1(SALU_CYCLE_1)
	s_or_b32 s1, s1, s0
	s_delay_alu instid0(SALU_CYCLE_1)
	s_and_saveexec_b32 s0, s1
; %bb.7:
	v_dual_mov_b32 v2, v16 :: v_dual_mov_b32 v3, v17
	v_dual_mov_b32 v0, v8 :: v_dual_mov_b32 v1, v9
	;; [unrolled: 1-line block ×3, first 2 shown]
	v_mov_b32_e32 v14, v25
	v_mov_b32_e32 v20, v26
	;; [unrolled: 1-line block ×3, first 2 shown]
; %bb.8:
	s_or_b32 exec_lo, exec_lo, s0
	v_cmp_eq_u32_e64 s0, v18, v12
	v_cmp_lt_i32_e64 s1, v19, v5
	v_cmp_lt_i32_e32 vcc_lo, v18, v12
	v_dual_mov_b32 v7, v19 :: v_dual_mov_b32 v6, v18
	v_dual_mov_b32 v17, v27 :: v_dual_mov_b32 v26, v5
	v_mov_b32_e32 v25, v28
	s_and_b32 s0, s0, s1
	s_delay_alu instid0(SALU_CYCLE_1) | instskip(NEXT) | instid1(SALU_CYCLE_1)
	s_or_b32 s1, vcc_lo, s0
	s_and_saveexec_b32 s0, s1
; %bb.9:
	v_dual_mov_b32 v7, v5 :: v_dual_mov_b32 v6, v4
	v_dual_mov_b32 v4, v18 :: v_dual_mov_b32 v5, v19
	;; [unrolled: 1-line block ×4, first 2 shown]
	v_mov_b32_e32 v13, v28
	v_mov_b32_e32 v23, v27
; %bb.10:
	s_or_b32 exec_lo, exec_lo, s0
	v_add_co_u32 v9, s0, s4, v21
	s_delay_alu instid0(VALU_DEP_1) | instskip(SKIP_4) | instid1(VALU_DEP_1)
	v_add_co_ci_u32_e64 v10, null, s5, 0, s0
	v_cmp_ne_u32_e64 s0, v12, v8
	v_cmp_ge_i32_e64 s1, v26, v3
	v_cmp_ge_i32_e32 vcc_lo, v12, v8
	v_add_co_u32 v15, s2, s2, v22
	v_add_co_ci_u32_e64 v16, null, s3, 0, s2
	s_delay_alu instid0(VALU_DEP_4) | instskip(NEXT) | instid1(SALU_CYCLE_1)
	s_or_b32 s0, s0, s1
                                        ; implicit-def: $vgpr8
	s_and_b32 s0, vcc_lo, s0
	s_delay_alu instid0(SALU_CYCLE_1) | instskip(NEXT) | instid1(SALU_CYCLE_1)
	s_and_saveexec_b32 s1, s0
	s_xor_b32 s0, exec_lo, s1
; %bb.11:
	v_mov_b32_e32 v8, v5
                                        ; implicit-def: $vgpr12
                                        ; implicit-def: $vgpr26
; %bb.12:
	s_or_saveexec_b32 s0, s0
	v_dual_mov_b32 v18, v3 :: v_dual_mov_b32 v5, v13
	v_mov_b32_e32 v19, v23
	s_xor_b32 exec_lo, exec_lo, s0
; %bb.13:
	v_dual_mov_b32 v18, v26 :: v_dual_mov_b32 v5, v3
	v_mov_b32_e32 v8, v3
	v_dual_mov_b32 v4, v2 :: v_dual_mov_b32 v5, v11
	v_dual_mov_b32 v2, v12 :: v_dual_mov_b32 v11, v13
	;; [unrolled: 1-line block ×3, first 2 shown]
	v_mov_b32_e32 v3, v13
; %bb.14:
	s_or_b32 exec_lo, exec_lo, s0
	s_delay_alu instid0(VALU_DEP_2)
	v_lshlrev_b16 v3, 8, v19
	v_and_b32_e32 v5, 0xff, v5
	v_lshlrev_b16 v12, 8, v17
	v_and_b32_e32 v13, 0xff, v25
	;; [unrolled: 2-line block ×4, first 2 shown]
	v_or_b32_e32 v3, v5, v3
	v_or_b32_e32 v5, v13, v12
	s_delay_alu instid0(VALU_DEP_3) | instskip(NEXT) | instid1(VALU_DEP_3)
	v_or_b32_e32 v11, v11, v19
	v_and_b32_e32 v13, 0xffff, v3
	v_mov_b32_e32 v3, v18
	v_or_b32_e32 v12, v14, v17
	v_dual_mov_b32 v5, v8 :: v_dual_lshlrev_b32 v14, 16, v5
	v_lshlrev_b32_e32 v11, 16, v11
	s_delay_alu instid0(VALU_DEP_3) | instskip(NEXT) | instid1(VALU_DEP_3)
	v_and_b32_e32 v17, 0xffff, v12
	v_or_b32_e32 v12, v13, v14
	s_delay_alu instid0(VALU_DEP_2)
	v_or_b32_e32 v11, v17, v11
	s_clause 0x1
	global_store_b128 v[9:10], v[0:3], off
	global_store_b128 v[9:10], v[4:7], off offset:16
	global_store_b64 v[15:16], v[11:12], off
	s_nop 0
	s_sendmsg sendmsg(MSG_DEALLOC_VGPRS)
	s_endpgm
	.section	.rodata,"a",@progbits
	.p2align	6, 0x0
	.amdhsa_kernel _Z16sort_keys_valuesILj256ELj4EN10test_utils16custom_test_typeIiEENS1_IcEENS0_4lessEEvPT1_PT2_T3_
		.amdhsa_group_segment_fixed_size 0
		.amdhsa_private_segment_fixed_size 0
		.amdhsa_kernarg_size 20
		.amdhsa_user_sgpr_count 15
		.amdhsa_user_sgpr_dispatch_ptr 0
		.amdhsa_user_sgpr_queue_ptr 0
		.amdhsa_user_sgpr_kernarg_segment_ptr 1
		.amdhsa_user_sgpr_dispatch_id 0
		.amdhsa_user_sgpr_private_segment_size 0
		.amdhsa_wavefront_size32 1
		.amdhsa_uses_dynamic_stack 0
		.amdhsa_enable_private_segment 0
		.amdhsa_system_sgpr_workgroup_id_x 1
		.amdhsa_system_sgpr_workgroup_id_y 0
		.amdhsa_system_sgpr_workgroup_id_z 0
		.amdhsa_system_sgpr_workgroup_info 0
		.amdhsa_system_vgpr_workitem_id 0
		.amdhsa_next_free_vgpr 29
		.amdhsa_next_free_sgpr 16
		.amdhsa_reserve_vcc 1
		.amdhsa_float_round_mode_32 0
		.amdhsa_float_round_mode_16_64 0
		.amdhsa_float_denorm_mode_32 3
		.amdhsa_float_denorm_mode_16_64 3
		.amdhsa_dx10_clamp 1
		.amdhsa_ieee_mode 1
		.amdhsa_fp16_overflow 0
		.amdhsa_workgroup_processor_mode 1
		.amdhsa_memory_ordered 1
		.amdhsa_forward_progress 0
		.amdhsa_shared_vgpr_count 0
		.amdhsa_exception_fp_ieee_invalid_op 0
		.amdhsa_exception_fp_denorm_src 0
		.amdhsa_exception_fp_ieee_div_zero 0
		.amdhsa_exception_fp_ieee_overflow 0
		.amdhsa_exception_fp_ieee_underflow 0
		.amdhsa_exception_fp_ieee_inexact 0
		.amdhsa_exception_int_div_zero 0
	.end_amdhsa_kernel
	.section	.text._Z16sort_keys_valuesILj256ELj4EN10test_utils16custom_test_typeIiEENS1_IcEENS0_4lessEEvPT1_PT2_T3_,"axG",@progbits,_Z16sort_keys_valuesILj256ELj4EN10test_utils16custom_test_typeIiEENS1_IcEENS0_4lessEEvPT1_PT2_T3_,comdat
.Lfunc_end17:
	.size	_Z16sort_keys_valuesILj256ELj4EN10test_utils16custom_test_typeIiEENS1_IcEENS0_4lessEEvPT1_PT2_T3_, .Lfunc_end17-_Z16sort_keys_valuesILj256ELj4EN10test_utils16custom_test_typeIiEENS1_IcEENS0_4lessEEvPT1_PT2_T3_
                                        ; -- End function
	.section	.AMDGPU.csdata,"",@progbits
; Kernel info:
; codeLenInByte = 960
; NumSgprs: 18
; NumVgprs: 29
; ScratchSize: 0
; MemoryBound: 0
; FloatMode: 240
; IeeeMode: 1
; LDSByteSize: 0 bytes/workgroup (compile time only)
; SGPRBlocks: 2
; VGPRBlocks: 3
; NumSGPRsForWavesPerEU: 18
; NumVGPRsForWavesPerEU: 29
; Occupancy: 16
; WaveLimiterHint : 0
; COMPUTE_PGM_RSRC2:SCRATCH_EN: 0
; COMPUTE_PGM_RSRC2:USER_SGPR: 15
; COMPUTE_PGM_RSRC2:TRAP_HANDLER: 0
; COMPUTE_PGM_RSRC2:TGID_X_EN: 1
; COMPUTE_PGM_RSRC2:TGID_Y_EN: 0
; COMPUTE_PGM_RSRC2:TGID_Z_EN: 0
; COMPUTE_PGM_RSRC2:TIDIG_COMP_CNT: 0
	.section	.text._Z16sort_keys_valuesILj256ELj11EdxN10test_utils4lessEEvPT1_PT2_T3_,"axG",@progbits,_Z16sort_keys_valuesILj256ELj11EdxN10test_utils4lessEEvPT1_PT2_T3_,comdat
	.protected	_Z16sort_keys_valuesILj256ELj11EdxN10test_utils4lessEEvPT1_PT2_T3_ ; -- Begin function _Z16sort_keys_valuesILj256ELj11EdxN10test_utils4lessEEvPT1_PT2_T3_
	.globl	_Z16sort_keys_valuesILj256ELj11EdxN10test_utils4lessEEvPT1_PT2_T3_
	.p2align	8
	.type	_Z16sort_keys_valuesILj256ELj11EdxN10test_utils4lessEEvPT1_PT2_T3_,@function
_Z16sort_keys_valuesILj256ELj11EdxN10test_utils4lessEEvPT1_PT2_T3_: ; @_Z16sort_keys_valuesILj256ELj11EdxN10test_utils4lessEEvPT1_PT2_T3_
; %bb.0:
	s_load_b128 s[0:3], s[0:1], 0x0
	v_mul_u32_u24_e32 v0, 11, v0
	s_mul_i32 s4, s15, 0xb00
	s_mov_b32 s5, 0
	s_delay_alu instid0(SALU_CYCLE_1) | instskip(NEXT) | instid1(VALU_DEP_1)
	s_lshl_b64 s[4:5], s[4:5], 3
	v_lshlrev_b32_e32 v240, 3, v0
	s_waitcnt lgkmcnt(0)
	s_add_u32 s0, s0, s4
	s_addc_u32 s1, s1, s5
	s_add_u32 s2, s2, s4
	global_load_b128 v[4:7], v240, s[0:1]
	s_addc_u32 s3, s3, s5
	s_clause 0xa
	global_load_b128 v[8:11], v240, s[0:1] offset:16
	global_load_b128 v[0:3], v240, s[2:3]
	global_load_b128 v[16:19], v240, s[0:1] offset:48
	global_load_b128 v[12:15], v240, s[0:1] offset:32
	global_load_b64 v[24:25], v240, s[0:1] offset:80
	global_load_b128 v[20:23], v240, s[0:1] offset:64
	global_load_b128 v[88:91], v240, s[2:3] offset:16
	;; [unrolled: 1-line block ×4, first 2 shown]
	global_load_b64 v[104:105], v240, s[2:3] offset:80
	global_load_b128 v[100:103], v240, s[2:3] offset:64
	s_waitcnt vmcnt(9)
	v_dual_mov_b32 v87, v3 :: v_dual_mov_b32 v86, v2
	v_dual_mov_b32 v85, v1 :: v_dual_mov_b32 v84, v0
	s_waitcnt vmcnt(5)
	v_dual_mov_b32 v83, v35 :: v_dual_mov_b32 v82, v34
	v_mov_b32_e32 v81, v33
	v_cmp_lt_f64_e32 vcc_lo, v[6:7], v[4:5]
	v_dual_mov_b32 v80, v32 :: v_dual_mov_b32 v79, v31
	v_dual_mov_b32 v78, v30 :: v_dual_mov_b32 v77, v29
	;; [unrolled: 1-line block ×16, first 2 shown]
	v_mov_b32_e32 v24, v22
	v_mov_b32_e32 v23, v21
	v_dual_mov_b32 v22, v20 :: v_dual_mov_b32 v21, v19
	v_dual_mov_b32 v20, v18 :: v_dual_mov_b32 v19, v17
	;; [unrolled: 1-line block ×4, first 2 shown]
	v_mov_b32_e32 v16, v14
	v_mov_b32_e32 v15, v13
	;; [unrolled: 1-line block ×11, first 2 shown]
	s_clause 0x7
	scratch_store_b128 off, v[6:9], off offset:256
	scratch_store_b128 off, v[10:13], off offset:272
	;; [unrolled: 1-line block ×8, first 2 shown]
	s_and_saveexec_b32 s4, vcc_lo
	s_cbranch_execz .LBB18_2
; %bb.1:
	s_clause 0x7
	scratch_load_b128 v[2:5], off, off offset:256
	scratch_load_b128 v[6:9], off, off offset:272
	;; [unrolled: 1-line block ×8, first 2 shown]
	v_dual_mov_b32 v84, v86 :: v_dual_mov_b32 v85, v87
	v_dual_mov_b32 v87, v1 :: v_dual_mov_b32 v86, v0
	s_waitcnt vmcnt(7)
	v_dual_mov_b32 v52, v4 :: v_dual_mov_b32 v53, v5
	v_dual_mov_b32 v54, v2 :: v_dual_mov_b32 v55, v3
	s_waitcnt vmcnt(6)
	;; [unrolled: 3-line block ×6, first 2 shown]
	v_dual_mov_b32 v72, v22 :: v_dual_mov_b32 v73, v23
	v_dual_mov_b32 v123, v5 :: v_dual_mov_b32 v122, v4
	;; [unrolled: 1-line block ×3, first 2 shown]
	s_waitcnt vmcnt(0)
	s_clause 0x7
	scratch_store_b128 off, v[2:5], off offset:256
	scratch_store_b128 off, v[6:9], off offset:272
	;; [unrolled: 1-line block ×8, first 2 shown]
.LBB18_2:
	s_or_b32 exec_lo, exec_lo, s4
	s_waitcnt vmcnt(0)
	v_dual_mov_b32 v0, v84 :: v_dual_mov_b32 v1, v85
	v_dual_mov_b32 v215, v115 :: v_dual_mov_b32 v214, v114
	;; [unrolled: 1-line block ×51, first 2 shown]
	v_mov_b32_e32 v113, v99
	v_dual_mov_b32 v112, v98 :: v_dual_mov_b32 v111, v97
	v_dual_mov_b32 v110, v96 :: v_dual_mov_b32 v109, v95
	;; [unrolled: 1-line block ×8, first 2 shown]
	v_mov_b32_e32 v90, v58
	s_clause 0x7
	scratch_store_b128 off, v[98:101], off offset:128
	scratch_store_b128 off, v[102:105], off offset:144
	;; [unrolled: 1-line block ×8, first 2 shown]
	v_dual_mov_b32 v46, v58 :: v_dual_mov_b32 v47, v59
	v_dual_mov_b32 v44, v56 :: v_dual_mov_b32 v45, v57
	s_mov_b32 s4, exec_lo
	s_clause 0x1f
	scratch_store_b128 off, v[98:101], off offset:512
	scratch_store_b128 off, v[102:105], off offset:528
	;; [unrolled: 1-line block ×32, first 2 shown]
	v_dual_mov_b32 v92, v102 :: v_dual_mov_b32 v93, v103
	v_cmpx_lt_f64_e32 v[58:59], v[56:57]
	s_cbranch_execz .LBB18_4
; %bb.3:
	v_dual_mov_b32 v22, v52 :: v_dual_mov_b32 v23, v53
	v_dual_mov_b32 v24, v54 :: v_dual_mov_b32 v25, v55
	v_dual_mov_b32 v26, v58 :: v_dual_mov_b32 v27, v59
	v_dual_mov_b32 v28, v56 :: v_dual_mov_b32 v29, v57
	v_dual_mov_b32 v30, v60 :: v_dual_mov_b32 v31, v61
	v_dual_mov_b32 v0, v98 :: v_dual_mov_b32 v1, v99
	v_dual_mov_b32 v2, v100 :: v_dual_mov_b32 v3, v101
	v_dual_mov_b32 v4, v104 :: v_dual_mov_b32 v5, v105
	s_clause 0x7
	scratch_store_b128 off, v[0:3], off offset:896
	scratch_store_b128 off, v[4:7], off offset:912
	;; [unrolled: 1-line block ×8, first 2 shown]
	v_dual_mov_b32 v6, v102 :: v_dual_mov_b32 v7, v103
	v_dual_mov_b32 v32, v62 :: v_dual_mov_b32 v33, v63
	;; [unrolled: 1-line block ×25, first 2 shown]
	v_mov_b32_e32 v93, v105
	v_dual_mov_b32 v105, v103 :: v_dual_mov_b32 v104, v102
	s_clause 0x7
	scratch_store_b128 off, v[0:3], off offset:768
	scratch_store_b128 off, v[4:7], off offset:784
	scratch_store_b128 off, v[8:11], off offset:800
	scratch_store_b128 off, v[12:15], off offset:816
	scratch_store_b128 off, v[16:19], off offset:832
	scratch_store_b128 off, v[20:23], off offset:848
	scratch_store_b128 off, v[24:27], off offset:864
	scratch_store_b128 off, v[28:31], off offset:880
	v_dual_mov_b32 v8, v106 :: v_dual_mov_b32 v9, v107
	s_clause 0x7
	scratch_store_b128 off, v[0:3], off offset:640
	scratch_store_b128 off, v[4:7], off offset:656
	scratch_store_b128 off, v[8:11], off offset:672
	scratch_store_b128 off, v[12:15], off offset:688
	scratch_store_b128 off, v[16:19], off offset:704
	scratch_store_b128 off, v[20:23], off offset:720
	scratch_store_b128 off, v[24:27], off offset:736
	scratch_store_b128 off, v[28:31], off offset:752
	;; [unrolled: 10-line block ×4, first 2 shown]
	v_dual_mov_b32 v14, v112 :: v_dual_mov_b32 v15, v113
	v_dual_mov_b32 v16, v114 :: v_dual_mov_b32 v17, v115
	;; [unrolled: 1-line block ×20, first 2 shown]
	v_mov_b32_e32 v52, v22
	v_dual_mov_b32 v44, v46 :: v_dual_mov_b32 v45, v47
.LBB18_4:
	s_or_b32 exec_lo, exec_lo, s4
	v_dual_mov_b32 v48, v62 :: v_dual_mov_b32 v49, v63
	v_dual_mov_b32 v46, v60 :: v_dual_mov_b32 v47, v61
	;; [unrolled: 1-line block ×4, first 2 shown]
	s_mov_b32 s4, exec_lo
	v_cmpx_lt_f64_e32 v[62:63], v[60:61]
	s_cbranch_execz .LBB18_6
; %bb.5:
	s_clause 0x7
	scratch_load_b128 v[146:149], off, off offset:768
	scratch_load_b128 v[150:153], off, off offset:784
	scratch_load_b128 v[154:157], off, off offset:800
	scratch_load_b128 v[158:161], off, off offset:816
	scratch_load_b128 v[162:165], off, off offset:832
	scratch_load_b128 v[166:169], off, off offset:848
	scratch_load_b128 v[170:173], off, off offset:864
	scratch_load_b128 v[174:177], off, off offset:880
	v_dual_mov_b32 v22, v52 :: v_dual_mov_b32 v23, v53
	v_dual_mov_b32 v24, v54 :: v_dual_mov_b32 v25, v55
	;; [unrolled: 1-line block ×13, first 2 shown]
	s_waitcnt vmcnt(5)
	v_dual_mov_b32 v95, v47 :: v_dual_mov_b32 v154, v108
	v_dual_mov_b32 v155, v109 :: v_dual_mov_b32 v138, v108
	;; [unrolled: 1-line block ×11, first 2 shown]
	v_mov_b32_e32 v89, v109
	v_dual_mov_b32 v109, v107 :: v_dual_mov_b32 v108, v106
	v_mov_b32_e32 v94, v46
	v_dual_mov_b32 v0, v146 :: v_dual_mov_b32 v1, v147
	v_dual_mov_b32 v2, v148 :: v_dual_mov_b32 v3, v149
	;; [unrolled: 1-line block ×4, first 2 shown]
	s_clause 0x7
	scratch_store_b128 off, v[0:3], off offset:512
	scratch_store_b128 off, v[4:7], off offset:528
	;; [unrolled: 1-line block ×8, first 2 shown]
	v_dual_mov_b32 v12, v110 :: v_dual_mov_b32 v13, v111
	s_clause 0x7
	scratch_store_b128 off, v[0:3], off offset:128
	scratch_store_b128 off, v[4:7], off offset:144
	;; [unrolled: 1-line block ×8, first 2 shown]
	v_dual_mov_b32 v130, v146 :: v_dual_mov_b32 v131, v147
	v_dual_mov_b32 v132, v148 :: v_dual_mov_b32 v133, v149
	;; [unrolled: 1-line block ×12, first 2 shown]
	v_mov_b32_e32 v83, v53
	v_dual_mov_b32 v82, v52 :: v_dual_mov_b32 v81, v51
	v_dual_mov_b32 v80, v50 :: v_dual_mov_b32 v79, v49
	;; [unrolled: 1-line block ×15, first 2 shown]
	v_mov_b32_e32 v52, v22
	v_dual_mov_b32 v46, v48 :: v_dual_mov_b32 v47, v49
	v_dual_mov_b32 v22, v146 :: v_dual_mov_b32 v23, v147
	;; [unrolled: 1-line block ×5, first 2 shown]
	s_clause 0x7
	scratch_store_b128 off, v[22:25], off offset:768
	scratch_store_b128 off, v[26:29], off offset:784
	;; [unrolled: 1-line block ×8, first 2 shown]
	s_waitcnt vmcnt(0)
	s_clause 0x7
	scratch_store_b128 off, v[146:149], off offset:640
	scratch_store_b128 off, v[150:153], off offset:656
	;; [unrolled: 1-line block ×8, first 2 shown]
.LBB18_6:
	s_or_b32 exec_lo, exec_lo, s4
	v_dual_mov_b32 v50, v66 :: v_dual_mov_b32 v51, v67
	v_dual_mov_b32 v48, v64 :: v_dual_mov_b32 v49, v65
	;; [unrolled: 1-line block ×4, first 2 shown]
	s_mov_b32 s4, exec_lo
	v_cmpx_lt_f64_e32 v[66:67], v[64:65]
	s_cbranch_execz .LBB18_8
; %bb.7:
	s_clause 0x7
	scratch_load_b128 v[146:149], off, off offset:512
	scratch_load_b128 v[150:153], off, off offset:528
	;; [unrolled: 1-line block ×8, first 2 shown]
	v_dual_mov_b32 v22, v52 :: v_dual_mov_b32 v23, v53
	v_dual_mov_b32 v24, v54 :: v_dual_mov_b32 v25, v55
	;; [unrolled: 1-line block ×11, first 2 shown]
	v_mov_b32_e32 v83, v53
	v_dual_mov_b32 v97, v49 :: v_dual_mov_b32 v96, v48
	v_dual_mov_b32 v82, v52 :: v_dual_mov_b32 v81, v51
	;; [unrolled: 1-line block ×16, first 2 shown]
	v_mov_b32_e32 v52, v22
	v_dual_mov_b32 v48, v50 :: v_dual_mov_b32 v49, v51
	s_waitcnt vmcnt(4)
	v_dual_mov_b32 v158, v112 :: v_dual_mov_b32 v159, v113
	v_dual_mov_b32 v142, v112 :: v_dual_mov_b32 v143, v113
	;; [unrolled: 1-line block ×37, first 2 shown]
	s_clause 0x7
	scratch_store_b128 off, v[22:25], off offset:512
	scratch_store_b128 off, v[26:29], off offset:528
	;; [unrolled: 1-line block ×8, first 2 shown]
	s_waitcnt vmcnt(0)
	s_clause 0x7
	scratch_store_b128 off, v[146:149], off offset:128
	scratch_store_b128 off, v[150:153], off offset:144
	;; [unrolled: 1-line block ×8, first 2 shown]
.LBB18_8:
	s_or_b32 exec_lo, exec_lo, s4
	v_cmp_lt_f64_e32 vcc_lo, v[70:71], v[68:69]
	v_dual_mov_b32 v22, v52 :: v_dual_mov_b32 v23, v53
	v_dual_mov_b32 v38, v68 :: v_dual_mov_b32 v39, v69
	v_dual_mov_b32 v36, v66 :: v_dual_mov_b32 v37, v67
	v_dual_mov_b32 v42, v72 :: v_dual_mov_b32 v43, v73
	v_dual_mov_b32 v24, v54 :: v_dual_mov_b32 v25, v55
	v_dual_mov_b32 v26, v56 :: v_dual_mov_b32 v27, v57
	v_dual_mov_b32 v28, v58 :: v_dual_mov_b32 v29, v59
	v_dual_mov_b32 v30, v60 :: v_dual_mov_b32 v31, v61
	v_dual_mov_b32 v32, v62 :: v_dual_mov_b32 v33, v63
	v_dual_mov_b32 v34, v64 :: v_dual_mov_b32 v35, v65
	v_dual_mov_b32 v40, v70 :: v_dual_mov_b32 v41, v71
	v_dual_mov_b32 v69, v37 :: v_dual_mov_b32 v68, v36
	v_dual_mov_b32 v75, v43 :: v_dual_mov_b32 v74, v42
	s_delay_alu instid0(VALU_DEP_4)
	v_dual_mov_b32 v67, v35 :: v_dual_mov_b32 v66, v34
	v_dual_mov_b32 v65, v33 :: v_dual_mov_b32 v64, v32
	;; [unrolled: 1-line block ×9, first 2 shown]
	s_clause 0x7
	scratch_store_b128 off, v[54:57], off
	scratch_store_b128 off, v[58:61], off offset:16
	scratch_store_b128 off, v[62:65], off offset:32
	;; [unrolled: 1-line block ×7, first 2 shown]
	v_dual_mov_b32 v53, v41 :: v_dual_mov_b32 v52, v40
	v_dual_mov_b32 v51, v39 :: v_dual_mov_b32 v50, v38
	;; [unrolled: 1-line block ×4, first 2 shown]
	s_and_saveexec_b32 s4, vcc_lo
	s_cbranch_execz .LBB18_10
; %bb.9:
	s_clause 0x7
	scratch_load_b128 v[0:3], off, off
	scratch_load_b128 v[4:7], off, off offset:16
	scratch_load_b128 v[8:11], off, off offset:32
	;; [unrolled: 1-line block ×7, first 2 shown]
	v_dual_mov_b32 v146, v116 :: v_dual_mov_b32 v147, v117
	v_dual_mov_b32 v215, v161 :: v_dual_mov_b32 v214, v160
	;; [unrolled: 1-line block ×3, first 2 shown]
	s_delay_alu instid0(VALU_DEP_3)
	v_dual_mov_b32 v201, v147 :: v_dual_mov_b32 v200, v146
	v_dual_mov_b32 v197, v143 :: v_dual_mov_b32 v196, v142
	;; [unrolled: 1-line block ×15, first 2 shown]
	s_waitcnt vmcnt(2)
	v_dual_mov_b32 v22, v0 :: v_dual_mov_b32 v23, v1
	s_waitcnt vmcnt(1)
	v_dual_mov_b32 v24, v2 :: v_dual_mov_b32 v25, v3
	v_dual_mov_b32 v26, v4 :: v_dual_mov_b32 v27, v5
	s_waitcnt vmcnt(0)
	v_dual_mov_b32 v28, v6 :: v_dual_mov_b32 v29, v7
	v_dual_mov_b32 v30, v8 :: v_dual_mov_b32 v31, v9
	;; [unrolled: 1-line block ×8, first 2 shown]
	s_clause 0x7
	scratch_store_b128 off, v[22:25], off
	scratch_store_b128 off, v[26:29], off offset:16
	scratch_store_b128 off, v[30:33], off offset:32
	;; [unrolled: 1-line block ×7, first 2 shown]
	v_dual_mov_b32 v0, v130 :: v_dual_mov_b32 v1, v131
	v_dual_mov_b32 v2, v132 :: v_dual_mov_b32 v3, v133
	;; [unrolled: 1-line block ×14, first 2 shown]
.LBB18_10:
	s_or_b32 exec_lo, exec_lo, s4
	s_clause 0x7
	scratch_load_b128 v[146:149], off, off offset:256
	scratch_load_b128 v[150:153], off, off offset:272
	;; [unrolled: 1-line block ×8, first 2 shown]
	v_dual_mov_b32 v22, v98 :: v_dual_mov_b32 v23, v99
	s_mov_b32 s4, exec_lo
	s_clause 0xf
	scratch_store_b128 off, v[22:25], off offset:1024
	scratch_store_b128 off, v[26:29], off offset:1040
	;; [unrolled: 1-line block ×16, first 2 shown]
	v_dual_mov_b32 v73, v45 :: v_dual_mov_b32 v72, v44
	v_dual_mov_b32 v115, v101 :: v_dual_mov_b32 v114, v100
	s_waitcnt vmcnt(7)
	v_cmpx_lt_f64_e32 v[44:45], v[148:149]
	s_xor_b32 s4, exec_lo, s4
	s_cbranch_execz .LBB18_12
; %bb.11:
	s_clause 0xf
	scratch_load_b128 v[0:3], off, off
	scratch_load_b128 v[4:7], off, off offset:16
	scratch_load_b128 v[8:11], off, off offset:32
	;; [unrolled: 1-line block ×15, first 2 shown]
	v_dual_mov_b32 v34, v92 :: v_dual_mov_b32 v35, v93
	v_dual_mov_b32 v32, v98 :: v_dual_mov_b32 v33, v99
	;; [unrolled: 1-line block ×3, first 2 shown]
	s_delay_alu instid0(VALU_DEP_3)
	v_dual_mov_b32 v58, v34 :: v_dual_mov_b32 v59, v35
	v_dual_mov_b32 v60, v100 :: v_dual_mov_b32 v61, v101
	;; [unrolled: 1-line block ×3, first 2 shown]
	s_waitcnt vmcnt(5)
	v_dual_mov_b32 v132, v34 :: v_dual_mov_b32 v133, v35
	v_dual_mov_b32 v212, v34 :: v_dual_mov_b32 v213, v35
	;; [unrolled: 1-line block ×6, first 2 shown]
	s_delay_alu instid0(VALU_DEP_4)
	v_dual_mov_b32 v222, v68 :: v_dual_mov_b32 v223, v69
	v_dual_mov_b32 v224, v112 :: v_dual_mov_b32 v225, v113
	;; [unrolled: 1-line block ×4, first 2 shown]
	v_mov_b32_e32 v92, v100
	v_dual_mov_b32 v66, v108 :: v_dual_mov_b32 v67, v109
	v_dual_mov_b32 v130, v98 :: v_dual_mov_b32 v131, v99
	;; [unrolled: 1-line block ×3, first 2 shown]
	s_waitcnt vmcnt(4)
	v_dual_mov_b32 v136, v104 :: v_dual_mov_b32 v137, v105
	s_waitcnt vmcnt(3)
	v_dual_mov_b32 v140, v108 :: v_dual_mov_b32 v141, v109
	v_dual_mov_b32 v142, v68 :: v_dual_mov_b32 v143, v69
	s_waitcnt vmcnt(2)
	v_dual_mov_b32 v144, v112 :: v_dual_mov_b32 v145, v113
	v_dual_mov_b32 v93, v101 :: v_dual_mov_b32 v2, v126
	;; [unrolled: 1-line block ×3, first 2 shown]
	s_delay_alu instid0(VALU_DEP_2) | instskip(NEXT) | instid1(VALU_DEP_2)
	v_dual_mov_b32 v73, v127 :: v_dual_mov_b32 v4, v2
	v_dual_mov_b32 v5, v3 :: v_dual_mov_b32 v2, v44
	v_mov_b32_e32 v3, v45
	s_clause 0x7
	scratch_store_b128 off, v[0:3], off
	scratch_store_b128 off, v[4:7], off offset:16
	scratch_store_b128 off, v[8:11], off offset:32
	;; [unrolled: 1-line block ×7, first 2 shown]
	v_dual_mov_b32 v0, v98 :: v_dual_mov_b32 v1, v99
	v_dual_mov_b32 v2, v34 :: v_dual_mov_b32 v3, v35
	;; [unrolled: 1-line block ×3, first 2 shown]
	s_clause 0x7
	scratch_store_b128 off, v[0:3], off offset:896
	scratch_store_b128 off, v[4:7], off offset:912
	;; [unrolled: 1-line block ×8, first 2 shown]
	v_dual_mov_b32 v6, v104 :: v_dual_mov_b32 v7, v105
	s_clause 0x7
	scratch_store_b128 off, v[0:3], off offset:768
	scratch_store_b128 off, v[4:7], off offset:784
	;; [unrolled: 1-line block ×8, first 2 shown]
	v_dual_mov_b32 v30, v88 :: v_dual_mov_b32 v31, v89
	v_dual_mov_b32 v22, v98 :: v_dual_mov_b32 v23, v99
	;; [unrolled: 1-line block ×7, first 2 shown]
	s_clause 0xf
	scratch_store_b128 off, v[0:3], off offset:512
	scratch_store_b128 off, v[4:7], off offset:528
	scratch_store_b128 off, v[8:11], off offset:544
	scratch_store_b128 off, v[12:15], off offset:560
	scratch_store_b128 off, v[16:19], off offset:576
	scratch_store_b128 off, v[20:23], off offset:592
	scratch_store_b128 off, v[24:27], off offset:608
	scratch_store_b128 off, v[28:31], off offset:624
	scratch_store_b128 off, v[32:35], off offset:1152
	scratch_store_b128 off, v[36:39], off offset:1168
	scratch_store_b128 off, v[40:43], off offset:1184
	scratch_store_b128 off, v[44:47], off offset:1200
	scratch_store_b128 off, v[48:51], off offset:1216
	scratch_store_b128 off, v[52:55], off offset:1232
	scratch_store_b128 off, v[56:59], off offset:1248
	scratch_store_b128 off, v[60:63], off offset:1264
	v_dual_mov_b32 v12, v68 :: v_dual_mov_b32 v13, v69
	v_dual_mov_b32 v14, v112 :: v_dual_mov_b32 v15, v113
	;; [unrolled: 1-line block ×9, first 2 shown]
	s_clause 0x7
	scratch_store_b128 off, v[30:33], off offset:256
	scratch_store_b128 off, v[34:37], off offset:272
	;; [unrolled: 1-line block ×8, first 2 shown]
	v_mov_b32_e32 v184, v210
	v_dual_mov_b32 v185, v211 :: v_dual_mov_b32 v186, v212
	v_dual_mov_b32 v187, v213 :: v_dual_mov_b32 v188, v214
	;; [unrolled: 1-line block ×13, first 2 shown]
	v_mov_b32_e32 v211, v237
	v_mov_b32_e32 v212, v238
	;; [unrolled: 1-line block ×5, first 2 shown]
	s_clause 0xf
	scratch_store_b128 off, v[56:59], off offset:128
	scratch_store_b128 off, v[60:63], off offset:144
	;; [unrolled: 1-line block ×16, first 2 shown]
.LBB18_12:
	s_or_b32 exec_lo, exec_lo, s4
	v_dual_mov_b32 v237, v47 :: v_dual_mov_b32 v236, v46
	v_dual_mov_b32 v22, v104 :: v_dual_mov_b32 v23, v105
	s_mov_b32 s4, exec_lo
	s_clause 0x7
	scratch_store_b128 off, v[16:19], off offset:1280
	scratch_store_b128 off, v[20:23], off offset:1296
	;; [unrolled: 1-line block ×8, first 2 shown]
	v_cmpx_lt_f64_e32 v[46:47], v[90:91]
	s_cbranch_execz .LBB18_14
; %bb.13:
	s_clause 0x7
	scratch_load_b128 v[0:3], off, off
	scratch_load_b128 v[4:7], off, off offset:16
	scratch_load_b128 v[8:11], off, off offset:32
	scratch_load_b128 v[12:15], off, off offset:48
	scratch_load_b128 v[16:19], off, off offset:64
	scratch_load_b128 v[20:23], off, off offset:80
	scratch_load_b128 v[24:27], off, off offset:96
	scratch_load_b128 v[28:31], off, off offset:112
	s_waitcnt vmcnt(6)
	v_dual_mov_b32 v6, v46 :: v_dual_mov_b32 v7, v47
	s_waitcnt vmcnt(5)
	v_dual_mov_b32 v8, v90 :: v_dual_mov_b32 v9, v91
	v_dual_mov_b32 v42, v178 :: v_dual_mov_b32 v43, v179
	;; [unrolled: 1-line block ×5, first 2 shown]
	s_delay_alu instid0(VALU_DEP_4)
	v_dual_mov_b32 v142, v42 :: v_dual_mov_b32 v143, v43
	v_dual_mov_b32 v222, v42 :: v_dual_mov_b32 v223, v43
	;; [unrolled: 1-line block ×13, first 2 shown]
	s_waitcnt vmcnt(0)
	s_clause 0x7
	scratch_store_b128 off, v[0:3], off
	scratch_store_b128 off, v[4:7], off offset:16
	scratch_store_b128 off, v[8:11], off offset:32
	;; [unrolled: 1-line block ×7, first 2 shown]
	s_clause 0x7
	scratch_load_b128 v[0:3], off, off offset:896
	scratch_load_b128 v[4:7], off, off offset:912
	;; [unrolled: 1-line block ×8, first 2 shown]
	s_waitcnt vmcnt(0)
	v_dual_mov_b32 v28, v88 :: v_dual_mov_b32 v29, v89
	v_dual_mov_b32 v6, v88 :: v_dual_mov_b32 v7, v89
	;; [unrolled: 1-line block ×7, first 2 shown]
	s_clause 0x7
	scratch_store_b128 off, v[0:3], off offset:640
	scratch_store_b128 off, v[4:7], off offset:656
	scratch_store_b128 off, v[8:11], off offset:672
	scratch_store_b128 off, v[12:15], off offset:688
	scratch_store_b128 off, v[16:19], off offset:704
	scratch_store_b128 off, v[20:23], off offset:720
	scratch_store_b128 off, v[24:27], off offset:736
	scratch_store_b128 off, v[28:31], off offset:752
	v_dual_mov_b32 v10, v108 :: v_dual_mov_b32 v11, v109
	s_clause 0x7
	scratch_store_b128 off, v[0:3], off offset:512
	scratch_store_b128 off, v[4:7], off offset:528
	scratch_store_b128 off, v[8:11], off offset:544
	scratch_store_b128 off, v[12:15], off offset:560
	scratch_store_b128 off, v[16:19], off offset:576
	scratch_store_b128 off, v[20:23], off offset:592
	scratch_store_b128 off, v[24:27], off offset:608
	scratch_store_b128 off, v[28:31], off offset:624
	v_dual_mov_b32 v12, v42 :: v_dual_mov_b32 v13, v43
	;; [unrolled: 10-line block ×3, first 2 shown]
	v_dual_mov_b32 v16, v226 :: v_dual_mov_b32 v17, v227
	v_dual_mov_b32 v18, v116 :: v_dual_mov_b32 v19, v117
	;; [unrolled: 1-line block ×6, first 2 shown]
	s_clause 0x7
	scratch_store_b128 off, v[30:33], off offset:128
	scratch_store_b128 off, v[34:37], off offset:144
	scratch_store_b128 off, v[38:41], off offset:160
	scratch_store_b128 off, v[42:45], off offset:176
	scratch_store_b128 off, v[46:49], off offset:192
	scratch_store_b128 off, v[50:53], off offset:208
	scratch_store_b128 off, v[54:57], off offset:224
	scratch_store_b128 off, v[58:61], off offset:240
	v_dual_mov_b32 v210, v22 :: v_dual_mov_b32 v211, v23
	v_dual_mov_b32 v212, v24 :: v_dual_mov_b32 v213, v25
	;; [unrolled: 1-line block ×3, first 2 shown]
	s_delay_alu instid0(VALU_DEP_3)
	v_dual_mov_b32 v184, v210 :: v_dual_mov_b32 v35, v5
	v_dual_mov_b32 v130, v22 :: v_dual_mov_b32 v131, v23
	;; [unrolled: 1-line block ×22, first 2 shown]
	s_clause 0xf
	scratch_store_b128 off, v[30:33], off offset:896
	scratch_store_b128 off, v[34:37], off offset:912
	;; [unrolled: 1-line block ×16, first 2 shown]
.LBB18_14:
	s_or_b32 exec_lo, exec_lo, s4
	v_dual_mov_b32 v233, v49 :: v_dual_mov_b32 v232, v48
	v_dual_mov_b32 v84, v108 :: v_dual_mov_b32 v85, v109
	s_mov_b32 s4, exec_lo
	v_cmpx_lt_f64_e32 v[48:49], v[94:95]
	s_cbranch_execz .LBB18_16
; %bb.15:
	s_clause 0x7
	scratch_load_b128 v[0:3], off, off
	scratch_load_b128 v[4:7], off, off offset:16
	scratch_load_b128 v[8:11], off, off offset:32
	;; [unrolled: 1-line block ×7, first 2 shown]
	s_waitcnt vmcnt(5)
	v_dual_mov_b32 v10, v48 :: v_dual_mov_b32 v11, v49
	s_waitcnt vmcnt(4)
	v_dual_mov_b32 v12, v94 :: v_dual_mov_b32 v13, v95
	v_dual_mov_b32 v220, v178 :: v_dual_mov_b32 v221, v179
	;; [unrolled: 1-line block ×11, first 2 shown]
	s_waitcnt vmcnt(0)
	s_clause 0x7
	scratch_store_b128 off, v[0:3], off
	scratch_store_b128 off, v[4:7], off offset:16
	scratch_store_b128 off, v[8:11], off offset:32
	scratch_store_b128 off, v[12:15], off offset:48
	scratch_store_b128 off, v[16:19], off offset:64
	scratch_store_b128 off, v[20:23], off offset:80
	scratch_store_b128 off, v[24:27], off offset:96
	scratch_store_b128 off, v[28:31], off offset:112
	s_clause 0x7
	scratch_load_b128 v[0:3], off, off offset:640
	scratch_load_b128 v[4:7], off, off offset:656
	;; [unrolled: 1-line block ×8, first 2 shown]
	s_waitcnt vmcnt(5)
	v_dual_mov_b32 v10, v178 :: v_dual_mov_b32 v11, v179
	s_waitcnt vmcnt(4)
	v_dual_mov_b32 v12, v108 :: v_dual_mov_b32 v13, v109
	v_dual_mov_b32 v179, v109 :: v_dual_mov_b32 v178, v108
	s_waitcnt vmcnt(0)
	v_dual_mov_b32 v31, v9 :: v_dual_mov_b32 v30, v8
	v_dual_mov_b32 v29, v7 :: v_dual_mov_b32 v28, v6
	;; [unrolled: 1-line block ×5, first 2 shown]
	s_clause 0x7
	scratch_store_b128 off, v[0:3], off offset:128
	scratch_store_b128 off, v[4:7], off offset:144
	;; [unrolled: 1-line block ×8, first 2 shown]
	v_dual_mov_b32 v14, v112 :: v_dual_mov_b32 v15, v113
	v_dual_mov_b32 v16, v226 :: v_dual_mov_b32 v17, v227
	;; [unrolled: 1-line block ×35, first 2 shown]
	s_clause 0xf
	scratch_store_b128 off, v[34:37], off offset:640
	scratch_store_b128 off, v[38:41], off offset:656
	;; [unrolled: 1-line block ×16, first 2 shown]
.LBB18_16:
	s_or_b32 exec_lo, exec_lo, s4
	v_dual_mov_b32 v231, v51 :: v_dual_mov_b32 v230, v50
	v_dual_mov_b32 v70, v112 :: v_dual_mov_b32 v71, v113
	s_mov_b32 s4, exec_lo
	v_cmpx_lt_f64_e32 v[50:51], v[96:97]
	s_cbranch_execz .LBB18_18
; %bb.17:
	s_clause 0x7
	scratch_load_b128 v[0:3], off, off
	scratch_load_b128 v[4:7], off, off offset:16
	scratch_load_b128 v[8:11], off, off offset:32
	;; [unrolled: 1-line block ×7, first 2 shown]
	s_waitcnt vmcnt(4)
	v_dual_mov_b32 v14, v50 :: v_dual_mov_b32 v15, v51
	s_waitcnt vmcnt(3)
	v_dual_mov_b32 v16, v96 :: v_dual_mov_b32 v17, v97
	v_dual_mov_b32 v198, v226 :: v_dual_mov_b32 v199, v227
	;; [unrolled: 1-line block ×6, first 2 shown]
	s_waitcnt vmcnt(0)
	s_clause 0x7
	scratch_store_b128 off, v[0:3], off
	scratch_store_b128 off, v[4:7], off offset:16
	scratch_store_b128 off, v[8:11], off offset:32
	;; [unrolled: 1-line block ×7, first 2 shown]
	s_clause 0x7
	scratch_load_b128 v[130:133], off, off offset:128
	scratch_load_b128 v[134:137], off, off offset:144
	;; [unrolled: 1-line block ×8, first 2 shown]
	s_waitcnt vmcnt(4)
	v_dual_mov_b32 v144, v226 :: v_dual_mov_b32 v145, v227
	v_dual_mov_b32 v14, v226 :: v_dual_mov_b32 v15, v227
	v_dual_mov_b32 v16, v112 :: v_dual_mov_b32 v17, v113
	v_dual_mov_b32 v18, v116 :: v_dual_mov_b32 v19, v117
	v_dual_mov_b32 v20, v118 :: v_dual_mov_b32 v21, v119
	v_dual_mov_b32 v227, v113 :: v_dual_mov_b32 v226, v112
	v_dual_mov_b32 v22, v130 :: v_dual_mov_b32 v23, v131
	v_dual_mov_b32 v184, v130 :: v_dual_mov_b32 v185, v131
	v_dual_mov_b32 v186, v132 :: v_dual_mov_b32 v187, v133
	v_dual_mov_b32 v188, v134 :: v_dual_mov_b32 v189, v135
	v_dual_mov_b32 v190, v136 :: v_dual_mov_b32 v191, v137
	v_dual_mov_b32 v192, v138 :: v_dual_mov_b32 v193, v139
	v_dual_mov_b32 v194, v140 :: v_dual_mov_b32 v195, v141
	v_dual_mov_b32 v196, v142 :: v_dual_mov_b32 v197, v143
	v_dual_mov_b32 v0, v130 :: v_dual_mov_b32 v1, v131
	v_dual_mov_b32 v2, v132 :: v_dual_mov_b32 v3, v133
	v_dual_mov_b32 v4, v134 :: v_dual_mov_b32 v5, v135
	v_dual_mov_b32 v6, v136 :: v_dual_mov_b32 v7, v137
	v_dual_mov_b32 v8, v138 :: v_dual_mov_b32 v9, v139
	v_dual_mov_b32 v10, v140 :: v_dual_mov_b32 v11, v141
	v_dual_mov_b32 v12, v142 :: v_dual_mov_b32 v13, v143
	v_dual_mov_b32 v24, v132 :: v_dual_mov_b32 v25, v133
	v_dual_mov_b32 v26, v134 :: v_dual_mov_b32 v27, v135
	v_dual_mov_b32 v28, v136 :: v_dual_mov_b32 v29, v137
	v_dual_mov_b32 v30, v138 :: v_dual_mov_b32 v31, v139
	v_dual_mov_b32 v32, v140 :: v_dual_mov_b32 v33, v141
	v_dual_mov_b32 v34, v142 :: v_dual_mov_b32 v35, v143
	s_clause 0x7
	scratch_store_b128 off, v[22:25], off offset:128
	scratch_store_b128 off, v[26:29], off offset:144
	;; [unrolled: 1-line block ×8, first 2 shown]
.LBB18_18:
	s_or_b32 exec_lo, exec_lo, s4
	s_clause 0x7
	scratch_load_b128 v[22:25], off, off
	scratch_load_b128 v[26:29], off, off offset:16
	scratch_load_b128 v[30:33], off, off offset:32
	;; [unrolled: 1-line block ×7, first 2 shown]
	v_dual_mov_b32 v181, v117 :: v_dual_mov_b32 v180, v116
	s_mov_b32 s4, exec_lo
	s_waitcnt vmcnt(2)
	v_dual_mov_b32 v32, v42 :: v_dual_mov_b32 v33, v43
	v_dual_mov_b32 v235, v43 :: v_dual_mov_b32 v234, v42
	v_cmpx_lt_f64_e32 v[42:43], v[54:55]
	s_cbranch_execz .LBB18_20
; %bb.19:
	s_clause 0x7
	scratch_load_b128 v[0:3], off, off
	scratch_load_b128 v[4:7], off, off offset:16
	scratch_load_b128 v[8:11], off, off offset:32
	;; [unrolled: 1-line block ×7, first 2 shown]
	s_waitcnt vmcnt(3)
	v_dual_mov_b32 v18, v32 :: v_dual_mov_b32 v19, v33
	s_waitcnt vmcnt(2)
	v_dual_mov_b32 v20, v54 :: v_dual_mov_b32 v21, v55
	v_dual_mov_b32 v146, v184 :: v_dual_mov_b32 v147, v185
	;; [unrolled: 1-line block ×16, first 2 shown]
	s_waitcnt vmcnt(0)
	s_clause 0x7
	scratch_store_b128 off, v[0:3], off
	scratch_store_b128 off, v[4:7], off offset:16
	scratch_store_b128 off, v[8:11], off offset:32
	;; [unrolled: 1-line block ×7, first 2 shown]
	v_dual_mov_b32 v0, v146 :: v_dual_mov_b32 v1, v147
	v_dual_mov_b32 v2, v148 :: v_dual_mov_b32 v3, v149
	;; [unrolled: 1-line block ×16, first 2 shown]
.LBB18_20:
	s_or_b32 exec_lo, exec_lo, s4
	s_clause 0x7
	scratch_load_b128 v[22:25], off, off offset:256
	scratch_load_b128 v[26:29], off, off offset:272
	;; [unrolled: 1-line block ×8, first 2 shown]
	v_dual_mov_b32 v110, v122 :: v_dual_mov_b32 v111, v123
	s_waitcnt vmcnt(7)
	v_dual_mov_b32 v22, v98 :: v_dual_mov_b32 v23, v99
	s_waitcnt vmcnt(2)
	v_dual_mov_b32 v42, v118 :: v_dual_mov_b32 v43, v119
	v_dual_mov_b32 v151, v99 :: v_dual_mov_b32 v150, v98
	s_mov_b32 s4, exec_lo
	s_waitcnt vmcnt(0)
	s_clause 0x7
	scratch_store_b128 off, v[22:25], off offset:384
	scratch_store_b128 off, v[26:29], off offset:400
	;; [unrolled: 1-line block ×8, first 2 shown]
	v_cmpx_lt_f64_e32 v[24:25], v[122:123]
	s_cbranch_execz .LBB18_22
; %bb.21:
	s_clause 0x7
	scratch_load_b128 v[0:3], off, off
	scratch_load_b128 v[4:7], off, off offset:16
	scratch_load_b128 v[8:11], off, off offset:32
	;; [unrolled: 1-line block ×7, first 2 shown]
	v_dual_mov_b32 v44, v88 :: v_dual_mov_b32 v45, v89
	v_dual_mov_b32 v56, v114 :: v_dual_mov_b32 v57, v115
	;; [unrolled: 1-line block ×10, first 2 shown]
	s_delay_alu instid0(VALU_DEP_3)
	v_dual_mov_b32 v174, v86 :: v_dual_mov_b32 v175, v87
	v_dual_mov_b32 v220, v108 :: v_dual_mov_b32 v221, v109
	;; [unrolled: 1-line block ×5, first 2 shown]
	s_waitcnt vmcnt(3)
	v_dual_mov_b32 v139, v19 :: v_dual_mov_b32 v138, v18
	v_dual_mov_b32 v137, v17 :: v_dual_mov_b32 v136, v16
	;; [unrolled: 1-line block ×8, first 2 shown]
	s_waitcnt vmcnt(2)
	v_dual_mov_b32 v141, v21 :: v_dual_mov_b32 v140, v20
	s_clause 0x7
	scratch_load_b128 v[0:3], off, off offset:256
	scratch_load_b128 v[4:7], off, off offset:272
	scratch_load_b128 v[8:11], off, off offset:288
	scratch_load_b128 v[12:15], off, off offset:304
	scratch_load_b128 v[16:19], off, off offset:320
	scratch_load_b128 v[20:23], off, off offset:336
	scratch_load_b128 v[24:27], off, off offset:352
	scratch_load_b128 v[28:31], off, off offset:368
	s_waitcnt vmcnt(7)
	v_dual_mov_b32 v35, v3 :: v_dual_mov_b32 v34, v2
	s_clause 0x7
	scratch_load_b128 v[0:3], off, off offset:384
	scratch_load_b128 v[4:7], off, off offset:400
	;; [unrolled: 1-line block ×8, first 2 shown]
	s_waitcnt vmcnt(6)
	v_dual_mov_b32 v6, v92 :: v_dual_mov_b32 v7, v93
	v_dual_mov_b32 v121, v35 :: v_dual_mov_b32 v120, v34
	;; [unrolled: 1-line block ×3, first 2 shown]
	s_delay_alu instid0(VALU_DEP_3) | instskip(SKIP_4) | instid1(VALU_DEP_3)
	v_dual_mov_b32 v4, v6 :: v_dual_mov_b32 v5, v7
	v_dual_mov_b32 v33, v1 :: v_dual_mov_b32 v32, v0
	;; [unrolled: 1-line block ×3, first 2 shown]
	s_waitcnt vmcnt(2)
	v_dual_mov_b32 v53, v21 :: v_dual_mov_b32 v52, v20
	v_dual_mov_b32 v2, v32 :: v_dual_mov_b32 v3, v33
	s_waitcnt vmcnt(0)
	s_clause 0x7
	scratch_store_b128 off, v[0:3], off offset:896
	scratch_store_b128 off, v[4:7], off offset:912
	;; [unrolled: 1-line block ×8, first 2 shown]
	s_clause 0x7
	scratch_load_b128 v[142:145], off, off offset:1280
	scratch_load_b128 v[146:149], off, off offset:1296
	;; [unrolled: 1-line block ×8, first 2 shown]
	v_dual_mov_b32 v116, v32 :: v_dual_mov_b32 v117, v33
	s_waitcnt vmcnt(7)
	v_dual_mov_b32 v142, v114 :: v_dual_mov_b32 v143, v115
	v_dual_mov_b32 v144, v32 :: v_dual_mov_b32 v145, v33
	s_waitcnt vmcnt(5)
	v_dual_mov_b32 v150, v44 :: v_dual_mov_b32 v151, v45
	s_waitcnt vmcnt(2)
	v_dual_mov_b32 v162, v114 :: v_dual_mov_b32 v163, v115
	v_dual_mov_b32 v157, v71 :: v_dual_mov_b32 v156, v70
	;; [unrolled: 1-line block ×3, first 2 shown]
	s_waitcnt vmcnt(0)
	v_dual_mov_b32 v170, v44 :: v_dual_mov_b32 v171, v45
	v_dual_mov_b32 v172, v108 :: v_dual_mov_b32 v173, v109
	;; [unrolled: 1-line block ×17, first 2 shown]
	s_clause 0x1f
	scratch_store_b128 off, v[120:123], off
	scratch_store_b128 off, v[124:127], off offset:16
	scratch_store_b128 off, v[128:131], off offset:32
	;; [unrolled: 1-line block ×31, first 2 shown]
	v_dual_mov_b32 v60, v6 :: v_dual_mov_b32 v61, v7
	v_dual_mov_b32 v168, v62 :: v_dual_mov_b32 v169, v63
	;; [unrolled: 1-line block ×25, first 2 shown]
	v_mov_b32_e32 v130, v142
	v_dual_mov_b32 v184, v210 :: v_dual_mov_b32 v131, v143
	v_dual_mov_b32 v185, v211 :: v_dual_mov_b32 v186, v212
	;; [unrolled: 1-line block ×22, first 2 shown]
	v_mov_b32_e32 v143, v155
	v_mov_b32_e32 v144, v156
	;; [unrolled: 1-line block ×19, first 2 shown]
	v_dual_mov_b32 v151, v115 :: v_dual_mov_b32 v34, v114
	v_dual_mov_b32 v35, v115 :: v_dual_mov_b32 v150, v114
	s_clause 0x17
	scratch_store_b128 off, v[74:77], off offset:128
	scratch_store_b128 off, v[78:81], off offset:144
	;; [unrolled: 1-line block ×24, first 2 shown]
	v_dual_mov_b32 v22, v62 :: v_dual_mov_b32 v23, v63
	s_clause 0xf
	scratch_store_b128 off, v[16:19], off offset:1280
	scratch_store_b128 off, v[20:23], off offset:1296
	;; [unrolled: 1-line block ×16, first 2 shown]
	v_dual_mov_b32 v115, v33 :: v_dual_mov_b32 v114, v32
.LBB18_22:
	s_or_b32 exec_lo, exec_lo, s4
	v_dual_mov_b32 v121, v91 :: v_dual_mov_b32 v120, v90
	v_dual_mov_b32 v44, v92 :: v_dual_mov_b32 v45, v93
	;; [unrolled: 1-line block ×3, first 2 shown]
	v_cmp_lt_f64_e32 vcc_lo, v[90:91], v[72:73]
	s_mov_b32 s4, exec_lo
	v_dual_mov_b32 v32, v150 :: v_dual_mov_b32 v33, v151
	s_and_b32 s5, s4, vcc_lo
	s_delay_alu instid0(SALU_CYCLE_1)
	s_mov_b32 exec_lo, s5
	s_cbranch_execz .LBB18_24
; %bb.23:
	s_clause 0x7
	scratch_load_b128 v[0:3], off, off
	scratch_load_b128 v[4:7], off, off offset:16
	scratch_load_b128 v[8:11], off, off offset:32
	;; [unrolled: 1-line block ×7, first 2 shown]
	s_waitcnt vmcnt(6)
	v_dual_mov_b32 v4, v90 :: v_dual_mov_b32 v5, v91
	v_dual_mov_b32 v6, v72 :: v_dual_mov_b32 v7, v73
	;; [unrolled: 1-line block ×28, first 2 shown]
	s_waitcnt vmcnt(0)
	s_clause 0x7
	scratch_store_b128 off, v[0:3], off
	scratch_store_b128 off, v[4:7], off offset:16
	scratch_store_b128 off, v[8:11], off offset:32
	;; [unrolled: 1-line block ×7, first 2 shown]
	s_clause 0x7
	scratch_load_b128 v[0:3], off, off offset:1152
	scratch_load_b128 v[4:7], off, off offset:1168
	;; [unrolled: 1-line block ×8, first 2 shown]
	v_dual_mov_b32 v151, v33 :: v_dual_mov_b32 v150, v32
	s_waitcnt vmcnt(7)
	v_dual_mov_b32 v49, v3 :: v_dual_mov_b32 v48, v2
	v_dual_mov_b32 v47, v1 :: v_dual_mov_b32 v46, v0
	s_clause 0x7
	scratch_load_b128 v[0:3], off, off offset:1280
	scratch_load_b128 v[4:7], off, off offset:1296
	;; [unrolled: 1-line block ×8, first 2 shown]
	s_waitcnt vmcnt(7)
	v_dual_mov_b32 v3, v49 :: v_dual_mov_b32 v2, v48
	v_dual_mov_b32 v1, v47 :: v_dual_mov_b32 v0, v46
	v_dual_mov_b32 v162, v46 :: v_dual_mov_b32 v163, v47
	v_dual_mov_b32 v210, v46 :: v_dual_mov_b32 v211, v47
	v_dual_mov_b32 v164, v48 :: v_dual_mov_b32 v165, v49
	v_dual_mov_b32 v98, v46 :: v_dual_mov_b32 v99, v47
	v_dual_mov_b32 v100, v48 :: v_dual_mov_b32 v101, v49
	v_dual_mov_b32 v74, v46 :: v_dual_mov_b32 v75, v47
	v_dual_mov_b32 v76, v48 :: v_dual_mov_b32 v77, v49
	v_dual_mov_b32 v212, v48 :: v_dual_mov_b32 v213, v49
	v_dual_mov_b32 v34, v46 :: v_dual_mov_b32 v35, v47
	v_dual_mov_b32 v36, v48 :: v_dual_mov_b32 v37, v49
	v_dual_mov_b32 v130, v46 :: v_dual_mov_b32 v131, v47
	v_dual_mov_b32 v132, v48 :: v_dual_mov_b32 v133, v49
	s_waitcnt vmcnt(6)
	v_dual_mov_b32 v57, v7 :: v_dual_mov_b32 v56, v6
	v_dual_mov_b32 v6, v44 :: v_dual_mov_b32 v7, v45
	s_delay_alu instid0(VALU_DEP_2)
	v_dual_mov_b32 v5, v57 :: v_dual_mov_b32 v4, v56
	s_waitcnt vmcnt(0)
	s_clause 0x7
	scratch_store_b128 off, v[0:3], off offset:768
	scratch_store_b128 off, v[4:7], off offset:784
	;; [unrolled: 1-line block ×8, first 2 shown]
	s_clause 0x7
	scratch_load_b128 v[0:3], off, off offset:384
	scratch_load_b128 v[4:7], off, off offset:400
	;; [unrolled: 1-line block ×8, first 2 shown]
	s_waitcnt vmcnt(6)
	v_dual_mov_b32 v6, v44 :: v_dual_mov_b32 v7, v45
	v_dual_mov_b32 v166, v56 :: v_dual_mov_b32 v167, v57
	v_dual_mov_b32 v102, v56 :: v_dual_mov_b32 v103, v57
	v_dual_mov_b32 v78, v56 :: v_dual_mov_b32 v79, v57
	v_dual_mov_b32 v129, v57 :: v_dual_mov_b32 v128, v56
	v_dual_mov_b32 v214, v56 :: v_dual_mov_b32 v215, v57
	v_dual_mov_b32 v50, v56 :: v_dual_mov_b32 v51, v57
	v_dual_mov_b32 v38, v56 :: v_dual_mov_b32 v39, v57
	v_dual_mov_b32 v134, v56 :: v_dual_mov_b32 v135, v57
	s_waitcnt vmcnt(2)
	v_dual_mov_b32 v53, v21 :: v_dual_mov_b32 v52, v20
	s_waitcnt vmcnt(0)
	s_clause 0x7
	scratch_store_b128 off, v[0:3], off offset:1280
	scratch_store_b128 off, v[4:7], off offset:1296
	;; [unrolled: 1-line block ×8, first 2 shown]
	v_dual_mov_b32 v183, v53 :: v_dual_mov_b32 v182, v52
	v_dual_mov_b32 v0, v162 :: v_dual_mov_b32 v1, v163
	;; [unrolled: 1-line block ×17, first 2 shown]
	v_mov_b32_e32 v184, v210
	v_dual_mov_b32 v185, v211 :: v_dual_mov_b32 v186, v212
	v_dual_mov_b32 v187, v213 :: v_dual_mov_b32 v188, v214
	;; [unrolled: 1-line block ×13, first 2 shown]
	v_mov_b32_e32 v211, v237
	v_dual_mov_b32 v212, v238 :: v_dual_mov_b32 v179, v87
	v_dual_mov_b32 v213, v239 :: v_dual_mov_b32 v178, v86
	s_clause 0x17
	scratch_store_b128 off, v[74:77], off offset:128
	scratch_store_b128 off, v[78:81], off offset:144
	scratch_store_b128 off, v[82:85], off offset:160
	scratch_store_b128 off, v[86:89], off offset:176
	scratch_store_b128 off, v[90:93], off offset:192
	scratch_store_b128 off, v[94:97], off offset:208
	scratch_store_b128 off, v[98:101], off offset:224
	scratch_store_b128 off, v[102:105], off offset:240
	scratch_store_b128 off, v[98:101], off offset:512
	scratch_store_b128 off, v[102:105], off offset:528
	scratch_store_b128 off, v[106:109], off offset:544
	scratch_store_b128 off, v[110:113], off offset:560
	scratch_store_b128 off, v[114:117], off offset:576
	scratch_store_b128 off, v[118:121], off offset:592
	scratch_store_b128 off, v[122:125], off offset:608
	scratch_store_b128 off, v[126:129], off offset:624
	scratch_store_b128 off, v[34:37], off offset:640
	scratch_store_b128 off, v[38:41], off offset:656
	scratch_store_b128 off, v[42:45], off offset:672
	scratch_store_b128 off, v[46:49], off offset:688
	scratch_store_b128 off, v[50:53], off offset:704
	scratch_store_b128 off, v[54:57], off offset:720
	scratch_store_b128 off, v[58:61], off offset:736
	scratch_store_b128 off, v[62:65], off offset:752
	v_mov_b32_e32 v214, v240
	v_dual_mov_b32 v22, v46 :: v_dual_mov_b32 v25, v49
	v_mov_b32_e32 v23, v47
	v_dual_mov_b32 v215, v241 :: v_dual_mov_b32 v24, v48
	s_clause 0xf
	scratch_store_b128 off, v[22:25], off offset:1152
	scratch_store_b128 off, v[26:29], off offset:1168
	;; [unrolled: 1-line block ×16, first 2 shown]
.LBB18_24:
	s_or_b32 exec_lo, exec_lo, s4
	v_dual_mov_b32 v125, v95 :: v_dual_mov_b32 v124, v94
	v_dual_mov_b32 v123, v89 :: v_dual_mov_b32 v122, v88
	s_mov_b32 s4, exec_lo
	v_cmpx_lt_f64_e32 v[94:95], v[236:237]
	s_cbranch_execz .LBB18_26
; %bb.25:
	s_clause 0x7
	scratch_load_b128 v[0:3], off, off
	scratch_load_b128 v[4:7], off, off offset:16
	scratch_load_b128 v[8:11], off, off offset:32
	;; [unrolled: 1-line block ×7, first 2 shown]
	s_waitcnt vmcnt(5)
	v_dual_mov_b32 v8, v94 :: v_dual_mov_b32 v9, v95
	v_dual_mov_b32 v10, v236 :: v_dual_mov_b32 v11, v237
	;; [unrolled: 1-line block ×6, first 2 shown]
	s_delay_alu instid0(VALU_DEP_4) | instskip(NEXT) | instid1(VALU_DEP_4)
	v_dual_mov_b32 v174, v46 :: v_dual_mov_b32 v175, v47
	v_dual_mov_b32 v176, v144 :: v_dual_mov_b32 v177, v145
	;; [unrolled: 1-line block ×16, first 2 shown]
	s_waitcnt vmcnt(0)
	s_clause 0x7
	scratch_store_b128 off, v[0:3], off
	scratch_store_b128 off, v[4:7], off offset:16
	scratch_store_b128 off, v[8:11], off offset:32
	;; [unrolled: 1-line block ×7, first 2 shown]
	s_clause 0x7
	scratch_load_b128 v[0:3], off, off offset:768
	scratch_load_b128 v[4:7], off, off offset:784
	;; [unrolled: 1-line block ×8, first 2 shown]
	s_waitcnt vmcnt(5)
	v_dual_mov_b32 v8, v84 :: v_dual_mov_b32 v9, v85
	v_dual_mov_b32 v10, v88 :: v_dual_mov_b32 v11, v89
	;; [unrolled: 1-line block ×8, first 2 shown]
	s_waitcnt vmcnt(0)
	s_clause 0x7
	scratch_store_b128 off, v[0:3], off offset:512
	scratch_store_b128 off, v[4:7], off offset:528
	;; [unrolled: 1-line block ×8, first 2 shown]
	s_clause 0x7
	scratch_load_b128 v[0:3], off, off offset:384
	scratch_load_b128 v[4:7], off, off offset:400
	scratch_load_b128 v[8:11], off, off offset:416
	scratch_load_b128 v[12:15], off, off offset:432
	scratch_load_b128 v[16:19], off, off offset:448
	scratch_load_b128 v[20:23], off, off offset:464
	scratch_load_b128 v[24:27], off, off offset:480
	scratch_load_b128 v[28:31], off, off offset:496
	v_dual_mov_b32 v164, v76 :: v_dual_mov_b32 v165, v77
	v_dual_mov_b32 v162, v74 :: v_dual_mov_b32 v163, v75
	;; [unrolled: 1-line block ×16, first 2 shown]
	s_waitcnt vmcnt(2)
	v_dual_mov_b32 v53, v21 :: v_dual_mov_b32 v52, v20
	s_delay_alu instid0(VALU_DEP_1)
	v_dual_mov_b32 v183, v53 :: v_dual_mov_b32 v182, v52
	s_waitcnt vmcnt(0)
	v_dual_mov_b32 v0, v162 :: v_dual_mov_b32 v1, v163
	v_dual_mov_b32 v2, v164 :: v_dual_mov_b32 v3, v165
	;; [unrolled: 1-line block ×16, first 2 shown]
	v_mov_b32_e32 v184, v210
	v_dual_mov_b32 v185, v211 :: v_dual_mov_b32 v186, v212
	v_dual_mov_b32 v187, v213 :: v_dual_mov_b32 v188, v214
	;; [unrolled: 1-line block ×13, first 2 shown]
	v_mov_b32_e32 v211, v237
	v_dual_mov_b32 v212, v238 :: v_dual_mov_b32 v179, v47
	v_dual_mov_b32 v213, v239 :: v_dual_mov_b32 v178, v46
	s_clause 0x7
	scratch_store_b128 off, v[34:37], off offset:128
	scratch_store_b128 off, v[38:41], off offset:144
	;; [unrolled: 1-line block ×8, first 2 shown]
	v_dual_mov_b32 v22, v74 :: v_dual_mov_b32 v25, v77
	v_dual_mov_b32 v214, v240 :: v_dual_mov_b32 v23, v75
	v_dual_mov_b32 v215, v241 :: v_dual_mov_b32 v24, v76
	v_dual_mov_b32 v26, v78 :: v_dual_mov_b32 v27, v79
	v_dual_mov_b32 v28, v80 :: v_dual_mov_b32 v29, v81
	s_clause 0xf
	scratch_store_b128 off, v[22:25], off offset:768
	scratch_store_b128 off, v[26:29], off offset:784
	;; [unrolled: 1-line block ×16, first 2 shown]
.LBB18_26:
	s_or_b32 exec_lo, exec_lo, s4
	v_dual_mov_b32 v127, v97 :: v_dual_mov_b32 v126, v96
	v_dual_mov_b32 v34, v178 :: v_dual_mov_b32 v35, v179
	;; [unrolled: 1-line block ×3, first 2 shown]
	s_mov_b32 s4, exec_lo
	v_cmpx_lt_f64_e32 v[96:97], v[232:233]
	s_cbranch_execz .LBB18_28
; %bb.27:
	s_clause 0x7
	scratch_load_b128 v[0:3], off, off
	scratch_load_b128 v[4:7], off, off offset:16
	scratch_load_b128 v[8:11], off, off offset:32
	;; [unrolled: 1-line block ×7, first 2 shown]
	s_waitcnt vmcnt(4)
	v_dual_mov_b32 v12, v96 :: v_dual_mov_b32 v13, v97
	v_dual_mov_b32 v14, v232 :: v_dual_mov_b32 v15, v233
	v_dual_mov_b32 v174, v70 :: v_dual_mov_b32 v175, v71
	v_dual_mov_b32 v176, v34 :: v_dual_mov_b32 v177, v35
	v_dual_mov_b32 v178, v226 :: v_dual_mov_b32 v179, v227
	v_dual_mov_b32 v222, v70 :: v_dual_mov_b32 v223, v71
	v_dual_mov_b32 v224, v34 :: v_dual_mov_b32 v225, v35
	v_dual_mov_b32 v126, v232 :: v_dual_mov_b32 v127, v233
	v_dual_mov_b32 v233, v97 :: v_dual_mov_b32 v232, v96
	v_dual_mov_b32 v151, v33 :: v_dual_mov_b32 v150, v32
	v_dual_mov_b32 v142, v70 :: v_dual_mov_b32 v143, v71
	v_dual_mov_b32 v144, v34 :: v_dual_mov_b32 v145, v35
	v_dual_mov_b32 v68, v70 :: v_dual_mov_b32 v69, v71
	v_dual_mov_b32 v81, v71 :: v_dual_mov_b32 v80, v70
	v_dual_mov_b32 v71, v35 :: v_dual_mov_b32 v70, v34
	s_waitcnt vmcnt(0)
	s_clause 0x7
	scratch_store_b128 off, v[0:3], off
	scratch_store_b128 off, v[4:7], off offset:16
	scratch_store_b128 off, v[8:11], off offset:32
	;; [unrolled: 1-line block ×7, first 2 shown]
	s_clause 0x7
	scratch_load_b128 v[0:3], off, off offset:512
	scratch_load_b128 v[4:7], off, off offset:528
	;; [unrolled: 1-line block ×8, first 2 shown]
	s_waitcnt vmcnt(5)
	v_dual_mov_b32 v67, v11 :: v_dual_mov_b32 v66, v10
	v_dual_mov_b32 v65, v9 :: v_dual_mov_b32 v64, v8
	;; [unrolled: 1-line block ×6, first 2 shown]
	s_clause 0x7
	scratch_load_b128 v[0:3], off, off offset:384
	scratch_load_b128 v[4:7], off, off offset:400
	;; [unrolled: 1-line block ×8, first 2 shown]
	v_dual_mov_b32 v165, v59 :: v_dual_mov_b32 v164, v58
	v_dual_mov_b32 v163, v57 :: v_dual_mov_b32 v162, v56
	;; [unrolled: 1-line block ×18, first 2 shown]
	s_waitcnt vmcnt(2)
	v_dual_mov_b32 v53, v21 :: v_dual_mov_b32 v52, v20
	s_delay_alu instid0(VALU_DEP_1)
	v_dual_mov_b32 v183, v53 :: v_dual_mov_b32 v182, v52
	s_waitcnt vmcnt(0)
	v_dual_mov_b32 v0, v162 :: v_dual_mov_b32 v1, v163
	v_dual_mov_b32 v22, v184 :: v_dual_mov_b32 v23, v185
	;; [unrolled: 1-line block ×16, first 2 shown]
	v_mov_b32_e32 v184, v210
	v_dual_mov_b32 v22, v56 :: v_dual_mov_b32 v29, v63
	v_mov_b32_e32 v23, v57
	v_dual_mov_b32 v185, v211 :: v_dual_mov_b32 v186, v212
	v_dual_mov_b32 v187, v213 :: v_dual_mov_b32 v188, v214
	;; [unrolled: 1-line block ×20, first 2 shown]
	s_clause 0xf
	scratch_store_b128 off, v[22:25], off offset:512
	scratch_store_b128 off, v[26:29], off offset:528
	;; [unrolled: 1-line block ×16, first 2 shown]
.LBB18_28:
	s_or_b32 exec_lo, exec_lo, s4
	v_dual_mov_b32 v117, v55 :: v_dual_mov_b32 v116, v54
	v_dual_mov_b32 v229, v227 :: v_dual_mov_b32 v228, v226
	s_mov_b32 s4, exec_lo
	v_cmpx_lt_f64_e32 v[54:55], v[230:231]
	s_cbranch_execz .LBB18_30
; %bb.29:
	s_clause 0xf
	scratch_load_b128 v[0:3], off, off
	scratch_load_b128 v[4:7], off, off offset:16
	scratch_load_b128 v[8:11], off, off offset:32
	;; [unrolled: 1-line block ×15, first 2 shown]
	s_waitcnt vmcnt(11)
	v_dual_mov_b32 v16, v54 :: v_dual_mov_b32 v17, v55
	s_waitcnt vmcnt(10)
	v_dual_mov_b32 v22, v130 :: v_dual_mov_b32 v23, v131
	;; [unrolled: 2-line block ×3, first 2 shown]
	v_dual_mov_b32 v26, v134 :: v_dual_mov_b32 v27, v135
	s_waitcnt vmcnt(8)
	v_dual_mov_b32 v28, v136 :: v_dual_mov_b32 v29, v137
	v_dual_mov_b32 v30, v138 :: v_dual_mov_b32 v31, v139
	;; [unrolled: 1-line block ×9, first 2 shown]
	v_mov_b32_e32 v116, v230
	s_clause 0x7
	scratch_store_b128 off, v[0:3], off
	scratch_store_b128 off, v[4:7], off offset:16
	scratch_store_b128 off, v[8:11], off offset:32
	scratch_store_b128 off, v[12:15], off offset:48
	scratch_store_b128 off, v[16:19], off offset:64
	scratch_store_b128 off, v[20:23], off offset:80
	scratch_store_b128 off, v[24:27], off offset:96
	scratch_store_b128 off, v[28:31], off offset:112
	s_waitcnt vmcnt(2)
	v_dual_mov_b32 v20, v214 :: v_dual_mov_b32 v21, v215
	v_dual_mov_b32 v42, v214 :: v_dual_mov_b32 v43, v215
	s_clause 0x7
	scratch_store_b128 off, v[0:3], off offset:384
	scratch_store_b128 off, v[4:7], off offset:400
	;; [unrolled: 1-line block ×8, first 2 shown]
	v_mov_b32_e32 v117, v231
	v_dual_mov_b32 v231, v55 :: v_dual_mov_b32 v230, v54
	v_dual_mov_b32 v229, v181 :: v_dual_mov_b32 v228, v180
	v_dual_mov_b32 v180, v226 :: v_dual_mov_b32 v215, v161
	v_mov_b32_e32 v181, v227
	v_dual_mov_b32 v201, v147 :: v_dual_mov_b32 v200, v146
	v_dual_mov_b32 v199, v145 :: v_dual_mov_b32 v198, v144
	;; [unrolled: 1-line block ×15, first 2 shown]
	v_mov_b32_e32 v202, v148
	v_mov_b32_e32 v0, v22
	v_dual_mov_b32 v1, v23 :: v_dual_mov_b32 v2, v24
	v_dual_mov_b32 v3, v25 :: v_dual_mov_b32 v4, v26
	;; [unrolled: 1-line block ×11, first 2 shown]
	v_mov_b32_e32 v23, v45
	v_mov_b32_e32 v24, v46
	;; [unrolled: 1-line block ×9, first 2 shown]
.LBB18_30:
	s_or_b32 exec_lo, exec_lo, s4
	s_clause 0x7
	scratch_load_b128 v[22:25], off, off offset:256
	scratch_load_b128 v[26:29], off, off offset:272
	;; [unrolled: 1-line block ×8, first 2 shown]
	v_dual_mov_b32 v119, v73 :: v_dual_mov_b32 v118, v72
	v_dual_mov_b32 v149, v115 :: v_dual_mov_b32 v148, v114
	s_mov_b32 s4, exec_lo
	s_waitcnt vmcnt(7)
	v_cmpx_lt_f64_e32 v[72:73], v[24:25]
	s_cbranch_execz .LBB18_32
; %bb.31:
	s_clause 0xf
	scratch_load_b128 v[0:3], off, off
	scratch_load_b128 v[4:7], off, off offset:16
	scratch_load_b128 v[8:11], off, off offset:32
	;; [unrolled: 1-line block ×15, first 2 shown]
	v_dual_mov_b32 v76, v128 :: v_dual_mov_b32 v77, v129
	v_dual_mov_b32 v78, v114 :: v_dual_mov_b32 v79, v115
	;; [unrolled: 1-line block ×3, first 2 shown]
	s_delay_alu instid0(VALU_DEP_3)
	v_dual_mov_b32 v102, v76 :: v_dual_mov_b32 v103, v77
	v_dual_mov_b32 v98, v122 :: v_dual_mov_b32 v99, v123
	;; [unrolled: 1-line block ×4, first 2 shown]
	s_waitcnt vmcnt(0)
	v_dual_mov_b32 v50, v76 :: v_dual_mov_b32 v51, v77
	v_dual_mov_b32 v46, v84 :: v_dual_mov_b32 v47, v85
	;; [unrolled: 1-line block ×32, first 2 shown]
	s_delay_alu instid0(VALU_DEP_2) | instskip(SKIP_3) | instid1(VALU_DEP_2)
	v_dual_mov_b32 v151, v35 :: v_dual_mov_b32 v150, v34
	v_dual_mov_b32 v149, v33 :: v_dual_mov_b32 v148, v32
	;; [unrolled: 1-line block ×6, first 2 shown]
	s_clause 0x7
	scratch_store_b128 off, v[0:3], off
	scratch_store_b128 off, v[4:7], off offset:16
	scratch_store_b128 off, v[8:11], off offset:32
	;; [unrolled: 1-line block ×7, first 2 shown]
	s_clause 0x7
	scratch_load_b128 v[0:3], off, off offset:1024
	scratch_load_b128 v[4:7], off, off offset:1040
	;; [unrolled: 1-line block ×8, first 2 shown]
	s_waitcnt vmcnt(7)
	v_dual_mov_b32 v49, v1 :: v_dual_mov_b32 v48, v0
	s_clause 0x7
	scratch_load_b128 v[0:3], off, off offset:1280
	scratch_load_b128 v[4:7], off, off offset:1296
	;; [unrolled: 1-line block ×8, first 2 shown]
	v_dual_mov_b32 v75, v49 :: v_dual_mov_b32 v74, v48
	v_dual_mov_b32 v100, v48 :: v_dual_mov_b32 v101, v49
	;; [unrolled: 1-line block ×8, first 2 shown]
	s_waitcnt vmcnt(6)
	v_dual_mov_b32 v107, v7 :: v_dual_mov_b32 v106, v6
	s_clause 0x7
	scratch_load_b128 v[0:3], off, off offset:384
	scratch_load_b128 v[4:7], off, off offset:400
	;; [unrolled: 1-line block ×8, first 2 shown]
	s_waitcnt vmcnt(7)
	v_dual_mov_b32 v2, v72 :: v_dual_mov_b32 v3, v73
	v_dual_mov_b32 v97, v107 :: v_dual_mov_b32 v96, v106
	s_clause 0x7
	scratch_store_b128 off, v[74:77], off offset:896
	scratch_store_b128 off, v[78:81], off offset:912
	scratch_store_b128 off, v[82:85], off offset:928
	scratch_store_b128 off, v[86:89], off offset:944
	scratch_store_b128 off, v[90:93], off offset:960
	scratch_store_b128 off, v[94:97], off offset:976
	scratch_store_b128 off, v[98:101], off offset:992
	scratch_store_b128 off, v[102:105], off offset:1008
	v_dual_mov_b32 v42, v106 :: v_dual_mov_b32 v43, v107
	v_dual_mov_b32 v60, v106 :: v_dual_mov_b32 v61, v107
	;; [unrolled: 1-line block ×5, first 2 shown]
	s_waitcnt vmcnt(2)
	v_dual_mov_b32 v53, v21 :: v_dual_mov_b32 v52, v20
	s_waitcnt vmcnt(0)
	s_clause 0x7
	scratch_store_b128 off, v[0:3], off offset:256
	scratch_store_b128 off, v[4:7], off offset:272
	;; [unrolled: 1-line block ×8, first 2 shown]
	v_dual_mov_b32 v183, v53 :: v_dual_mov_b32 v182, v52
	s_clause 0x17
	scratch_store_b128 off, v[54:57], off offset:128
	scratch_store_b128 off, v[58:61], off offset:144
	;; [unrolled: 1-line block ×24, first 2 shown]
	v_dual_mov_b32 v0, v162 :: v_dual_mov_b32 v1, v163
	v_dual_mov_b32 v22, v184 :: v_dual_mov_b32 v23, v185
	v_dual_mov_b32 v16, v178 :: v_dual_mov_b32 v17, v179
	v_dual_mov_b32 v18, v180 :: v_dual_mov_b32 v19, v181
	v_dual_mov_b32 v20, v182 :: v_dual_mov_b32 v21, v183
	v_dual_mov_b32 v24, v186 :: v_dual_mov_b32 v25, v187
	v_dual_mov_b32 v26, v188 :: v_dual_mov_b32 v27, v189
	v_dual_mov_b32 v28, v190 :: v_dual_mov_b32 v29, v191
	v_dual_mov_b32 v30, v192 :: v_dual_mov_b32 v31, v193
	v_dual_mov_b32 v2, v164 :: v_dual_mov_b32 v3, v165
	v_dual_mov_b32 v4, v166 :: v_dual_mov_b32 v5, v167
	v_dual_mov_b32 v6, v168 :: v_dual_mov_b32 v7, v169
	v_dual_mov_b32 v8, v170 :: v_dual_mov_b32 v9, v171
	v_dual_mov_b32 v10, v172 :: v_dual_mov_b32 v11, v173
	v_dual_mov_b32 v12, v174 :: v_dual_mov_b32 v13, v175
	v_dual_mov_b32 v14, v176 :: v_dual_mov_b32 v15, v177
	v_mov_b32_e32 v184, v212
	v_dual_mov_b32 v185, v213 :: v_dual_mov_b32 v186, v214
	v_dual_mov_b32 v187, v215 :: v_dual_mov_b32 v188, v216
	;; [unrolled: 1-line block ×14, first 2 shown]
	v_mov_b32_e32 v213, v241
	v_mov_b32_e32 v214, v242
	v_dual_mov_b32 v215, v243 :: v_dual_mov_b32 v22, v106
	v_mov_b32_e32 v23, v107
	s_clause 0xf
	scratch_store_b128 off, v[16:19], off offset:1280
	scratch_store_b128 off, v[20:23], off offset:1296
	;; [unrolled: 1-line block ×16, first 2 shown]
	v_dual_mov_b32 v22, v48 :: v_dual_mov_b32 v23, v49
	s_clause 0xf
	scratch_store_b128 off, v[22:25], off offset:1024
	scratch_store_b128 off, v[26:29], off offset:1040
	;; [unrolled: 1-line block ×16, first 2 shown]
.LBB18_32:
	s_or_b32 exec_lo, exec_lo, s4
	s_clause 0x7
	scratch_load_b128 v[22:25], off, off offset:1280
	scratch_load_b128 v[26:29], off, off offset:1296
	;; [unrolled: 1-line block ×8, first 2 shown]
	v_dual_mov_b32 v244, v237 :: v_dual_mov_b32 v243, v236
	v_cmp_lt_f64_e32 vcc_lo, v[236:237], v[120:121]
	s_waitcnt vmcnt(6)
	v_dual_mov_b32 v59, v29 :: v_dual_mov_b32 v58, v28
	v_dual_mov_b32 v93, v29 :: v_dual_mov_b32 v92, v28
	s_mov_b32 s4, exec_lo
	v_dual_mov_b32 v86, v148 :: v_dual_mov_b32 v87, v149
	v_dual_mov_b32 v88, v150 :: v_dual_mov_b32 v89, v151
	s_and_b32 s5, s4, vcc_lo
	s_delay_alu instid0(SALU_CYCLE_1)
	s_mov_b32 exec_lo, s5
	s_cbranch_execz .LBB18_34
; %bb.33:
	s_clause 0x7
	scratch_load_b128 v[0:3], off, off
	scratch_load_b128 v[4:7], off, off offset:16
	scratch_load_b128 v[8:11], off, off offset:32
	;; [unrolled: 1-line block ×7, first 2 shown]
	s_waitcnt vmcnt(6)
	v_dual_mov_b32 v6, v236 :: v_dual_mov_b32 v7, v237
	s_waitcnt vmcnt(5)
	v_dual_mov_b32 v8, v120 :: v_dual_mov_b32 v9, v121
	v_dual_mov_b32 v56, v84 :: v_dual_mov_b32 v57, v85
	;; [unrolled: 1-line block ×28, first 2 shown]
	s_waitcnt vmcnt(0)
	s_clause 0x7
	scratch_store_b128 off, v[0:3], off
	scratch_store_b128 off, v[4:7], off offset:16
	scratch_store_b128 off, v[8:11], off offset:32
	scratch_store_b128 off, v[12:15], off offset:48
	scratch_store_b128 off, v[16:19], off offset:64
	scratch_store_b128 off, v[20:23], off offset:80
	scratch_store_b128 off, v[24:27], off offset:96
	scratch_store_b128 off, v[28:31], off offset:112
	s_clause 0x7
	scratch_load_b128 v[0:3], off, off offset:896
	scratch_load_b128 v[4:7], off, off offset:912
	;; [unrolled: 1-line block ×8, first 2 shown]
	s_waitcnt vmcnt(6)
	v_dual_mov_b32 v6, v122 :: v_dual_mov_b32 v7, v123
	s_waitcnt vmcnt(5)
	v_dual_mov_b32 v8, v58 :: v_dual_mov_b32 v9, v59
	v_dual_mov_b32 v123, v59 :: v_dual_mov_b32 v122, v58
	;; [unrolled: 1-line block ×7, first 2 shown]
	s_waitcnt vmcnt(0)
	s_clause 0x7
	scratch_store_b128 off, v[0:3], off offset:640
	scratch_store_b128 off, v[4:7], off offset:656
	;; [unrolled: 1-line block ×8, first 2 shown]
	s_clause 0x7
	scratch_load_b128 v[0:3], off, off offset:384
	scratch_load_b128 v[4:7], off, off offset:400
	;; [unrolled: 1-line block ×8, first 2 shown]
	v_dual_mov_b32 v48, v100 :: v_dual_mov_b32 v49, v101
	v_dual_mov_b32 v46, v98 :: v_dual_mov_b32 v47, v99
	;; [unrolled: 1-line block ×6, first 2 shown]
	s_clause 0xf
	scratch_store_b128 off, v[32:35], off offset:128
	scratch_store_b128 off, v[36:39], off offset:144
	;; [unrolled: 1-line block ×16, first 2 shown]
	v_dual_mov_b32 v162, v98 :: v_dual_mov_b32 v163, v99
	v_dual_mov_b32 v212, v98 :: v_dual_mov_b32 v213, v99
	;; [unrolled: 1-line block ×9, first 2 shown]
	s_waitcnt vmcnt(2)
	v_dual_mov_b32 v183, v21 :: v_dual_mov_b32 v182, v20
	s_waitcnt vmcnt(0)
	v_dual_mov_b32 v0, v162 :: v_dual_mov_b32 v1, v163
	v_dual_mov_b32 v22, v184 :: v_dual_mov_b32 v23, v185
	v_dual_mov_b32 v24, v186 :: v_dual_mov_b32 v25, v187
	v_dual_mov_b32 v26, v188 :: v_dual_mov_b32 v27, v189
	v_dual_mov_b32 v2, v164 :: v_dual_mov_b32 v3, v165
	v_dual_mov_b32 v4, v166 :: v_dual_mov_b32 v5, v167
	v_dual_mov_b32 v6, v168 :: v_dual_mov_b32 v7, v169
	v_dual_mov_b32 v8, v170 :: v_dual_mov_b32 v9, v171
	v_dual_mov_b32 v10, v172 :: v_dual_mov_b32 v11, v173
	v_dual_mov_b32 v12, v174 :: v_dual_mov_b32 v13, v175
	v_dual_mov_b32 v14, v176 :: v_dual_mov_b32 v15, v177
	v_dual_mov_b32 v16, v178 :: v_dual_mov_b32 v17, v179
	v_dual_mov_b32 v18, v180 :: v_dual_mov_b32 v19, v181
	v_dual_mov_b32 v20, v182 :: v_dual_mov_b32 v21, v183
	v_dual_mov_b32 v28, v190 :: v_dual_mov_b32 v29, v191
	v_dual_mov_b32 v30, v192 :: v_dual_mov_b32 v31, v193
	v_mov_b32_e32 v184, v212
	v_dual_mov_b32 v22, v98 :: v_dual_mov_b32 v23, v99
	v_dual_mov_b32 v185, v213 :: v_dual_mov_b32 v186, v214
	v_dual_mov_b32 v187, v215 :: v_dual_mov_b32 v188, v216
	v_dual_mov_b32 v189, v217 :: v_dual_mov_b32 v190, v218
	v_dual_mov_b32 v191, v219 :: v_dual_mov_b32 v192, v220
	v_dual_mov_b32 v193, v221 :: v_dual_mov_b32 v194, v222
	v_dual_mov_b32 v195, v223 :: v_dual_mov_b32 v196, v224
	v_dual_mov_b32 v197, v225 :: v_dual_mov_b32 v198, v226
	v_dual_mov_b32 v199, v227 :: v_dual_mov_b32 v200, v228
	v_dual_mov_b32 v201, v229 :: v_dual_mov_b32 v202, v230
	v_dual_mov_b32 v203, v231 :: v_dual_mov_b32 v204, v232
	v_dual_mov_b32 v205, v233 :: v_dual_mov_b32 v206, v234
	v_dual_mov_b32 v207, v235 :: v_dual_mov_b32 v208, v236
	v_dual_mov_b32 v209, v237 :: v_dual_mov_b32 v210, v238
	v_dual_mov_b32 v211, v239 :: v_dual_mov_b32 v212, v240
	v_mov_b32_e32 v213, v241
	v_mov_b32_e32 v214, v242
	v_dual_mov_b32 v215, v243 :: v_dual_mov_b32 v24, v100
	v_dual_mov_b32 v25, v101 :: v_dual_mov_b32 v26, v102
	v_mov_b32_e32 v27, v103
	s_clause 0xf
	scratch_store_b128 off, v[22:25], off offset:896
	scratch_store_b128 off, v[26:29], off offset:912
	;; [unrolled: 1-line block ×16, first 2 shown]
.LBB18_34:
	s_or_b32 exec_lo, exec_lo, s4
	v_dual_mov_b32 v76, v232 :: v_dual_mov_b32 v77, v233
	v_dual_mov_b32 v22, v84 :: v_dual_mov_b32 v23, v85
	s_mov_b32 s4, exec_lo
	s_waitcnt vmcnt(2)
	s_clause 0x7
	scratch_store_b128 off, v[12:15], off offset:1664
	scratch_store_b128 off, v[16:19], off offset:1680
	;; [unrolled: 1-line block ×8, first 2 shown]
	v_cmpx_lt_f64_e32 v[232:233], v[124:125]
	s_cbranch_execz .LBB18_36
; %bb.35:
	s_clause 0x7
	scratch_load_b128 v[0:3], off, off
	scratch_load_b128 v[4:7], off, off offset:16
	scratch_load_b128 v[8:11], off, off offset:32
	;; [unrolled: 1-line block ×7, first 2 shown]
	s_waitcnt vmcnt(5)
	v_dual_mov_b32 v10, v232 :: v_dual_mov_b32 v11, v233
	s_waitcnt vmcnt(4)
	v_dual_mov_b32 v12, v124 :: v_dual_mov_b32 v13, v125
	v_dual_mov_b32 v32, v84 :: v_dual_mov_b32 v33, v85
	;; [unrolled: 1-line block ×4, first 2 shown]
	s_delay_alu instid0(VALU_DEP_3)
	v_dual_mov_b32 v174, v32 :: v_dual_mov_b32 v175, v33
	v_dual_mov_b32 v178, v228 :: v_dual_mov_b32 v179, v229
	;; [unrolled: 1-line block ×10, first 2 shown]
	s_waitcnt vmcnt(0)
	s_clause 0x7
	scratch_store_b128 off, v[0:3], off
	scratch_store_b128 off, v[4:7], off offset:16
	scratch_store_b128 off, v[8:11], off offset:32
	scratch_store_b128 off, v[12:15], off offset:48
	scratch_store_b128 off, v[16:19], off offset:64
	scratch_store_b128 off, v[20:23], off offset:80
	scratch_store_b128 off, v[24:27], off offset:96
	scratch_store_b128 off, v[28:31], off offset:112
	s_clause 0x7
	scratch_load_b128 v[0:3], off, off offset:640
	scratch_load_b128 v[4:7], off, off offset:656
	;; [unrolled: 1-line block ×8, first 2 shown]
	s_waitcnt vmcnt(5)
	v_dual_mov_b32 v10, v80 :: v_dual_mov_b32 v11, v81
	s_waitcnt vmcnt(4)
	v_dual_mov_b32 v12, v32 :: v_dual_mov_b32 v13, v33
	v_dual_mov_b32 v107, v9 :: v_dual_mov_b32 v106, v8
	;; [unrolled: 1-line block ×6, first 2 shown]
	s_waitcnt vmcnt(0)
	s_clause 0x7
	scratch_store_b128 off, v[0:3], off offset:128
	scratch_store_b128 off, v[4:7], off offset:144
	;; [unrolled: 1-line block ×8, first 2 shown]
	s_clause 0x7
	scratch_load_b128 v[0:3], off, off offset:384
	scratch_load_b128 v[4:7], off, off offset:400
	;; [unrolled: 1-line block ×8, first 2 shown]
	s_waitcnt vmcnt(5)
	v_dual_mov_b32 v10, v80 :: v_dual_mov_b32 v11, v81
	v_dual_mov_b32 v162, v98 :: v_dual_mov_b32 v163, v99
	;; [unrolled: 1-line block ×17, first 2 shown]
	v_mov_b32_e32 v161, v87
	v_dual_mov_b32 v151, v77 :: v_dual_mov_b32 v150, v76
	v_dual_mov_b32 v149, v75 :: v_dual_mov_b32 v148, v74
	v_dual_mov_b32 v145, v71 :: v_dual_mov_b32 v144, v70
	v_dual_mov_b32 v143, v69 :: v_dual_mov_b32 v142, v68
	v_dual_mov_b32 v141, v67 :: v_dual_mov_b32 v140, v66
	v_dual_mov_b32 v139, v65 :: v_dual_mov_b32 v138, v64
	v_dual_mov_b32 v137, v63 :: v_dual_mov_b32 v136, v62
	v_dual_mov_b32 v135, v61 :: v_dual_mov_b32 v134, v60
	v_dual_mov_b32 v133, v59 :: v_dual_mov_b32 v132, v58
	v_dual_mov_b32 v131, v57 :: v_dual_mov_b32 v130, v56
	v_dual_mov_b32 v160, v86 :: v_dual_mov_b32 v159, v85
	v_dual_mov_b32 v158, v84 :: v_dual_mov_b32 v157, v83
	v_dual_mov_b32 v156, v82 :: v_dual_mov_b32 v155, v81
	v_dual_mov_b32 v154, v80 :: v_dual_mov_b32 v153, v79
	v_dual_mov_b32 v152, v78 :: v_dual_mov_b32 v147, v73
	v_dual_mov_b32 v146, v72 :: v_dual_mov_b32 v151, v89
	v_dual_mov_b32 v150, v88 :: v_dual_mov_b32 v149, v87
	s_waitcnt vmcnt(2)
	v_dual_mov_b32 v148, v86 :: v_dual_mov_b32 v53, v21
	v_mov_b32_e32 v52, v20
	s_waitcnt vmcnt(0)
	s_clause 0x7
	scratch_store_b128 off, v[0:3], off offset:1664
	scratch_store_b128 off, v[4:7], off offset:1680
	;; [unrolled: 1-line block ×8, first 2 shown]
	v_dual_mov_b32 v183, v53 :: v_dual_mov_b32 v182, v52
	v_dual_mov_b32 v0, v162 :: v_dual_mov_b32 v1, v163
	;; [unrolled: 1-line block ×17, first 2 shown]
	v_mov_b32_e32 v184, v212
	v_dual_mov_b32 v22, v98 :: v_dual_mov_b32 v23, v99
	v_dual_mov_b32 v185, v213 :: v_dual_mov_b32 v186, v214
	v_dual_mov_b32 v187, v215 :: v_dual_mov_b32 v188, v216
	v_dual_mov_b32 v189, v217 :: v_dual_mov_b32 v190, v218
	v_dual_mov_b32 v191, v219 :: v_dual_mov_b32 v192, v220
	v_dual_mov_b32 v193, v221 :: v_dual_mov_b32 v194, v222
	v_dual_mov_b32 v195, v223 :: v_dual_mov_b32 v196, v224
	v_dual_mov_b32 v197, v225 :: v_dual_mov_b32 v198, v226
	v_dual_mov_b32 v199, v227 :: v_dual_mov_b32 v200, v228
	v_dual_mov_b32 v201, v229 :: v_dual_mov_b32 v202, v230
	v_dual_mov_b32 v24, v100 :: v_dual_mov_b32 v25, v101
	v_dual_mov_b32 v26, v102 :: v_dual_mov_b32 v27, v103
	v_dual_mov_b32 v28, v104 :: v_dual_mov_b32 v29, v105
	v_dual_mov_b32 v30, v106 :: v_dual_mov_b32 v31, v107
	v_dual_mov_b32 v203, v231 :: v_dual_mov_b32 v204, v232
	v_dual_mov_b32 v205, v233 :: v_dual_mov_b32 v206, v234
	v_dual_mov_b32 v207, v235 :: v_dual_mov_b32 v208, v236
	v_dual_mov_b32 v209, v237 :: v_dual_mov_b32 v210, v238
	v_dual_mov_b32 v211, v239 :: v_dual_mov_b32 v212, v240
	v_mov_b32_e32 v213, v241
	v_mov_b32_e32 v214, v242
	;; [unrolled: 1-line block ×3, first 2 shown]
	s_clause 0xf
	scratch_store_b128 off, v[22:25], off offset:640
	scratch_store_b128 off, v[26:29], off offset:656
	;; [unrolled: 1-line block ×16, first 2 shown]
.LBB18_36:
	s_or_b32 exec_lo, exec_lo, s4
	v_dual_mov_b32 v78, v230 :: v_dual_mov_b32 v79, v231
	v_dual_mov_b32 v22, v70 :: v_dual_mov_b32 v23, v71
	s_mov_b32 s4, exec_lo
	s_clause 0x7
	scratch_store_b128 off, v[8:11], off offset:1536
	scratch_store_b128 off, v[12:15], off offset:1552
	;; [unrolled: 1-line block ×8, first 2 shown]
	v_cmpx_lt_f64_e32 v[230:231], v[126:127]
	s_cbranch_execz .LBB18_38
; %bb.37:
	s_clause 0x7
	scratch_load_b128 v[0:3], off, off
	scratch_load_b128 v[4:7], off, off offset:16
	scratch_load_b128 v[8:11], off, off offset:32
	;; [unrolled: 1-line block ×7, first 2 shown]
	s_waitcnt vmcnt(4)
	v_dual_mov_b32 v14, v230 :: v_dual_mov_b32 v15, v231
	s_waitcnt vmcnt(3)
	v_dual_mov_b32 v16, v126 :: v_dual_mov_b32 v17, v127
	v_dual_mov_b32 v176, v228 :: v_dual_mov_b32 v177, v229
	;; [unrolled: 1-line block ×7, first 2 shown]
	s_waitcnt vmcnt(0)
	s_clause 0x7
	scratch_store_b128 off, v[0:3], off
	scratch_store_b128 off, v[4:7], off offset:16
	scratch_store_b128 off, v[8:11], off offset:32
	;; [unrolled: 1-line block ×7, first 2 shown]
	s_clause 0xf
	scratch_load_b128 v[130:133], off, off offset:128
	scratch_load_b128 v[134:137], off, off offset:144
	;; [unrolled: 1-line block ×16, first 2 shown]
	v_dual_mov_b32 v14, v228 :: v_dual_mov_b32 v15, v229
	s_waitcnt vmcnt(10)
	v_dual_mov_b32 v151, v89 :: v_dual_mov_b32 v150, v88
	v_dual_mov_b32 v144, v228 :: v_dual_mov_b32 v145, v229
	;; [unrolled: 1-line block ×4, first 2 shown]
	s_clause 0x7
	scratch_store_b128 off, v[0:3], off offset:1536
	scratch_store_b128 off, v[4:7], off offset:1552
	;; [unrolled: 1-line block ×8, first 2 shown]
	v_dual_mov_b32 v162, v130 :: v_dual_mov_b32 v163, v131
	v_dual_mov_b32 v184, v130 :: v_dual_mov_b32 v185, v131
	;; [unrolled: 1-line block ×12, first 2 shown]
	s_waitcnt vmcnt(2)
	v_dual_mov_b32 v182, v52 :: v_dual_mov_b32 v183, v53
	v_dual_mov_b32 v0, v162 :: v_dual_mov_b32 v1, v163
	;; [unrolled: 1-line block ×26, first 2 shown]
	s_clause 0x7
	scratch_store_b128 off, v[22:25], off offset:128
	scratch_store_b128 off, v[26:29], off offset:144
	;; [unrolled: 1-line block ×8, first 2 shown]
.LBB18_38:
	s_or_b32 exec_lo, exec_lo, s4
	s_clause 0x7
	scratch_load_b128 v[32:35], off, off offset:384
	scratch_load_b128 v[36:39], off, off offset:400
	;; [unrolled: 1-line block ×8, first 2 shown]
	v_dual_mov_b32 v74, v234 :: v_dual_mov_b32 v75, v235
	s_waitcnt vmcnt(3)
	v_dual_mov_b32 v50, v180 :: v_dual_mov_b32 v51, v181
	s_mov_b32 s4, exec_lo
	s_waitcnt vmcnt(0)
	s_clause 0x7
	scratch_store_b128 off, v[32:35], off offset:384
	scratch_store_b128 off, v[36:39], off offset:400
	;; [unrolled: 1-line block ×8, first 2 shown]
	v_cmpx_lt_f64_e32 v[234:235], v[116:117]
	s_cbranch_execz .LBB18_40
; %bb.39:
	s_clause 0x7
	scratch_load_b128 v[0:3], off, off offset:384
	scratch_load_b128 v[4:7], off, off offset:400
	scratch_load_b128 v[8:11], off, off offset:416
	scratch_load_b128 v[12:15], off, off offset:432
	scratch_load_b128 v[16:19], off, off offset:448
	scratch_load_b128 v[20:23], off, off offset:464
	scratch_load_b128 v[24:27], off, off offset:480
	scratch_load_b128 v[28:31], off, off offset:496
	v_dual_mov_b32 v34, v184 :: v_dual_mov_b32 v35, v185
	v_dual_mov_b32 v36, v186 :: v_dual_mov_b32 v37, v187
	;; [unrolled: 1-line block ×11, first 2 shown]
	s_waitcnt vmcnt(2)
	v_dual_mov_b32 v33, v21 :: v_dual_mov_b32 v32, v20
	s_clause 0x7
	scratch_load_b128 v[0:3], off, off
	scratch_load_b128 v[4:7], off, off offset:16
	scratch_load_b128 v[8:11], off, off offset:32
	;; [unrolled: 1-line block ×7, first 2 shown]
	s_waitcnt vmcnt(3)
	v_dual_mov_b32 v18, v234 :: v_dual_mov_b32 v19, v235
	s_waitcnt vmcnt(2)
	v_dual_mov_b32 v20, v116 :: v_dual_mov_b32 v21, v117
	v_dual_mov_b32 v52, v32 :: v_dual_mov_b32 v53, v33
	;; [unrolled: 1-line block ×3, first 2 shown]
	s_waitcnt vmcnt(0)
	s_clause 0x7
	scratch_store_b128 off, v[0:3], off
	scratch_store_b128 off, v[4:7], off offset:16
	scratch_store_b128 off, v[8:11], off offset:32
	scratch_store_b128 off, v[12:15], off offset:48
	scratch_store_b128 off, v[16:19], off offset:64
	scratch_store_b128 off, v[20:23], off offset:80
	scratch_store_b128 off, v[24:27], off offset:96
	scratch_store_b128 off, v[28:31], off offset:112
	v_dual_mov_b32 v0, v34 :: v_dual_mov_b32 v1, v35
	v_dual_mov_b32 v30, v64 :: v_dual_mov_b32 v31, v65
	;; [unrolled: 1-line block ×18, first 2 shown]
	s_clause 0x7
	scratch_store_b128 off, v[12:15], off offset:384
	scratch_store_b128 off, v[16:19], off offset:400
	;; [unrolled: 1-line block ×8, first 2 shown]
.LBB18_40:
	s_or_b32 exec_lo, exec_lo, s4
	s_clause 0x7
	scratch_load_b128 v[22:25], off, off offset:256
	scratch_load_b128 v[26:29], off, off offset:272
	;; [unrolled: 1-line block ×8, first 2 shown]
	v_dual_mov_b32 v72, v110 :: v_dual_mov_b32 v73, v111
	s_waitcnt vmcnt(7)
	v_dual_mov_b32 v22, v150 :: v_dual_mov_b32 v23, v151
	s_mov_b32 s4, exec_lo
	s_waitcnt vmcnt(0)
	s_clause 0x7
	scratch_store_b128 off, v[20:23], off offset:1408
	scratch_store_b128 off, v[24:27], off offset:1424
	;; [unrolled: 1-line block ×8, first 2 shown]
	v_cmpx_lt_f64_e32 v[24:25], v[110:111]
	s_cbranch_execz .LBB18_42
; %bb.41:
	s_clause 0x7
	scratch_load_b128 v[0:3], off, off
	scratch_load_b128 v[4:7], off, off offset:16
	scratch_load_b128 v[8:11], off, off offset:32
	;; [unrolled: 1-line block ×7, first 2 shown]
	v_dual_mov_b32 v96, v110 :: v_dual_mov_b32 v97, v111
	v_dual_mov_b32 v88, v92 :: v_dual_mov_b32 v89, v93
	;; [unrolled: 1-line block ×4, first 2 shown]
	s_delay_alu instid0(VALU_DEP_3)
	v_dual_mov_b32 v218, v88 :: v_dual_mov_b32 v219, v89
	v_dual_mov_b32 v82, v148 :: v_dual_mov_b32 v83, v149
	;; [unrolled: 1-line block ×6, first 2 shown]
	s_waitcnt vmcnt(3)
	v_dual_mov_b32 v71, v19 :: v_dual_mov_b32 v70, v18
	v_dual_mov_b32 v61, v9 :: v_dual_mov_b32 v60, v8
	;; [unrolled: 1-line block ×4, first 2 shown]
	s_delay_alu instid0(VALU_DEP_3) | instskip(NEXT) | instid1(VALU_DEP_3)
	v_dual_mov_b32 v102, v60 :: v_dual_mov_b32 v103, v61
	v_dual_mov_b32 v100, v58 :: v_dual_mov_b32 v101, v59
	s_delay_alu instid0(VALU_DEP_3)
	v_dual_mov_b32 v98, v56 :: v_dual_mov_b32 v99, v57
	s_clause 0x7
	scratch_load_b128 v[30:33], off, off offset:256
	scratch_load_b128 v[34:37], off, off offset:272
	;; [unrolled: 1-line block ×8, first 2 shown]
	v_dual_mov_b32 v69, v17 :: v_dual_mov_b32 v68, v16
	v_dual_mov_b32 v67, v15 :: v_dual_mov_b32 v66, v14
	;; [unrolled: 1-line block ×4, first 2 shown]
	s_waitcnt vmcnt(10)
	v_dual_mov_b32 v73, v21 :: v_dual_mov_b32 v72, v20
	s_clause 0x7
	scratch_load_b128 v[0:3], off, off offset:1664
	scratch_load_b128 v[4:7], off, off offset:1680
	;; [unrolled: 1-line block ×8, first 2 shown]
	v_dual_mov_b32 v112, v70 :: v_dual_mov_b32 v113, v71
	v_dual_mov_b32 v104, v62 :: v_dual_mov_b32 v105, v63
	;; [unrolled: 1-line block ×6, first 2 shown]
	s_waitcnt vmcnt(9)
	v_dual_mov_b32 v56, v122 :: v_dual_mov_b32 v57, v123
	s_waitcnt vmcnt(8)
	v_dual_mov_b32 v58, v128 :: v_dual_mov_b32 v59, v129
	v_dual_mov_b32 v48, v148 :: v_dual_mov_b32 v49, v149
	;; [unrolled: 1-line block ×26, first 2 shown]
	s_waitcnt vmcnt(5)
	v_dual_mov_b32 v71, v11 :: v_dual_mov_b32 v70, v10
	s_clause 0x7
	scratch_load_b128 v[0:3], off, off offset:1536
	scratch_load_b128 v[4:7], off, off offset:1552
	;; [unrolled: 1-line block ×8, first 2 shown]
	v_dual_mov_b32 v45, v71 :: v_dual_mov_b32 v44, v70
	v_dual_mov_b32 v222, v70 :: v_dual_mov_b32 v223, v71
	;; [unrolled: 1-line block ×3, first 2 shown]
	s_waitcnt vmcnt(4)
	v_dual_mov_b32 v145, v15 :: v_dual_mov_b32 v144, v14
	s_clause 0x7
	scratch_load_b128 v[0:3], off, off offset:384
	scratch_load_b128 v[4:7], off, off offset:400
	;; [unrolled: 1-line block ×8, first 2 shown]
	s_clause 0x7
	scratch_store_b128 off, v[94:97], off
	scratch_store_b128 off, v[98:101], off offset:16
	scratch_store_b128 off, v[102:105], off offset:32
	scratch_store_b128 off, v[106:109], off offset:48
	scratch_store_b128 off, v[110:113], off offset:64
	scratch_store_b128 off, v[114:117], off offset:80
	scratch_store_b128 off, v[118:121], off offset:96
	scratch_store_b128 off, v[122:125], off offset:112
	s_waitcnt vmcnt(4)
	v_dual_mov_b32 v10, v70 :: v_dual_mov_b32 v13, v47
	v_dual_mov_b32 v12, v46 :: v_dual_mov_b32 v15, v145
	v_dual_mov_b32 v2, v150 :: v_dual_mov_b32 v5, v59
	v_dual_mov_b32 v4, v58 :: v_dual_mov_b32 v7, v89
	v_dual_mov_b32 v6, v88 :: v_dual_mov_b32 v9, v57
	v_dual_mov_b32 v8, v56 :: v_dual_mov_b32 v11, v71
	s_waitcnt vmcnt(3)
	v_dual_mov_b32 v14, v144 :: v_dual_mov_b32 v17, v229
	v_dual_mov_b32 v16, v228 :: v_dual_mov_b32 v227, v145
	;; [unrolled: 1-line block ×3, first 2 shown]
	v_mov_b32_e32 v184, v212
	v_dual_mov_b32 v0, v148 :: v_dual_mov_b32 v3, v151
	s_waitcnt vmcnt(2)
	v_dual_mov_b32 v22, v96 :: v_dual_mov_b32 v23, v97
	s_waitcnt vmcnt(0)
	s_clause 0x7
	scratch_store_b128 off, v[20:23], off offset:256
	scratch_store_b128 off, v[24:27], off offset:272
	;; [unrolled: 1-line block ×8, first 2 shown]
	v_dual_mov_b32 v25, v21 :: v_dual_mov_b32 v24, v20
	v_dual_mov_b32 v23, v19 :: v_dual_mov_b32 v22, v18
	s_clause 0x7
	scratch_store_b128 off, v[4:7], off offset:384
	scratch_store_b128 off, v[8:11], off offset:400
	scratch_store_b128 off, v[12:15], off offset:416
	scratch_store_b128 off, v[16:19], off offset:432
	scratch_store_b128 off, v[20:23], off offset:448
	scratch_store_b128 off, v[24:27], off offset:464
	scratch_store_b128 off, v[28:31], off offset:480
	scratch_store_b128 off, v[32:35], off offset:496
	v_dual_mov_b32 v22, v148 :: v_dual_mov_b32 v27, v153
	v_mov_b32_e32 v23, v149
	v_dual_mov_b32 v185, v213 :: v_dual_mov_b32 v186, v214
	v_dual_mov_b32 v187, v215 :: v_dual_mov_b32 v188, v216
	;; [unrolled: 1-line block ×18, first 2 shown]
	s_clause 0xf
	scratch_store_b128 off, v[14:17], off offset:1536
	scratch_store_b128 off, v[18:21], off offset:1552
	;; [unrolled: 1-line block ×16, first 2 shown]
	v_dual_mov_b32 v22, v70 :: v_dual_mov_b32 v23, v71
	s_clause 0xf
	scratch_store_b128 off, v[12:15], off offset:1664
	scratch_store_b128 off, v[16:19], off offset:1680
	;; [unrolled: 1-line block ×16, first 2 shown]
	v_dual_mov_b32 v123, v57 :: v_dual_mov_b32 v122, v56
	s_clause 0x1f
	scratch_store_b128 off, v[48:51], off offset:640
	scratch_store_b128 off, v[52:55], off offset:656
	;; [unrolled: 1-line block ×32, first 2 shown]
	s_clause 0x7
	scratch_store_b128 off, v[148:151], off offset:1024
	scratch_store_b128 off, v[152:155], off offset:1040
	;; [unrolled: 1-line block ×8, first 2 shown]
	v_dual_mov_b32 v22, v148 :: v_dual_mov_b32 v23, v149
	v_dual_mov_b32 v148, v150 :: v_dual_mov_b32 v149, v151
	s_clause 0x7
	scratch_store_b128 off, v[20:23], off offset:1408
	scratch_store_b128 off, v[24:27], off offset:1424
	;; [unrolled: 1-line block ×8, first 2 shown]
.LBB18_42:
	s_or_b32 exec_lo, exec_lo, s4
	v_dual_mov_b32 v235, v121 :: v_dual_mov_b32 v234, v120
	v_dual_mov_b32 v22, v128 :: v_dual_mov_b32 v23, v129
	v_cmp_lt_f64_e32 vcc_lo, v[120:121], v[118:119]
	s_clause 0x7
	scratch_store_b128 off, v[20:23], off offset:1920
	scratch_store_b128 off, v[24:27], off offset:1936
	;; [unrolled: 1-line block ×8, first 2 shown]
	s_mov_b32 s4, exec_lo
	v_dual_mov_b32 v90, v122 :: v_dual_mov_b32 v91, v123
	s_and_b32 s5, s4, vcc_lo
	s_delay_alu instid0(SALU_CYCLE_1)
	s_mov_b32 exec_lo, s5
	s_cbranch_execz .LBB18_44
; %bb.43:
	s_clause 0x7
	scratch_load_b128 v[0:3], off, off
	scratch_load_b128 v[4:7], off, off offset:16
	scratch_load_b128 v[8:11], off, off offset:32
	;; [unrolled: 1-line block ×7, first 2 shown]
	s_waitcnt vmcnt(6)
	v_dual_mov_b32 v4, v120 :: v_dual_mov_b32 v5, v121
	v_dual_mov_b32 v6, v118 :: v_dual_mov_b32 v7, v119
	;; [unrolled: 1-line block ×12, first 2 shown]
	s_waitcnt vmcnt(0)
	s_clause 0x7
	scratch_store_b128 off, v[0:3], off
	scratch_store_b128 off, v[4:7], off offset:16
	scratch_store_b128 off, v[8:11], off offset:32
	scratch_store_b128 off, v[12:15], off offset:48
	scratch_store_b128 off, v[16:19], off offset:64
	scratch_store_b128 off, v[20:23], off offset:80
	scratch_store_b128 off, v[24:27], off offset:96
	scratch_store_b128 off, v[28:31], off offset:112
	s_clause 0x7
	scratch_load_b128 v[32:35], off, off offset:1152
	scratch_load_b128 v[36:39], off, off offset:1168
	;; [unrolled: 1-line block ×8, first 2 shown]
	v_dual_mov_b32 v4, v92 :: v_dual_mov_b32 v5, v93
	v_dual_mov_b32 v6, v128 :: v_dual_mov_b32 v7, v129
	s_waitcnt vmcnt(6)
	v_dual_mov_b32 v36, v92 :: v_dual_mov_b32 v37, v93
	v_dual_mov_b32 v0, v32 :: v_dual_mov_b32 v1, v33
	;; [unrolled: 1-line block ×4, first 2 shown]
	s_clause 0x7
	scratch_store_b128 off, v[0:3], off offset:768
	scratch_store_b128 off, v[4:7], off offset:784
	;; [unrolled: 1-line block ×8, first 2 shown]
	s_clause 0xf
	scratch_load_b128 v[38:41], off, off offset:1664
	scratch_load_b128 v[42:45], off, off offset:1680
	;; [unrolled: 1-line block ×16, first 2 shown]
	s_waitcnt vmcnt(15)
	v_dual_mov_b32 v38, v32 :: v_dual_mov_b32 v39, v33
	v_dual_mov_b32 v40, v34 :: v_dual_mov_b32 v41, v35
	s_waitcnt vmcnt(14)
	v_dual_mov_b32 v42, v92 :: v_dual_mov_b32 v43, v93
	v_dual_mov_b32 v44, v128 :: v_dual_mov_b32 v45, v129
	;; [unrolled: 3-line block ×3, first 2 shown]
	s_waitcnt vmcnt(12)
	v_dual_mov_b32 v52, v32 :: v_dual_mov_b32 v53, v33
	s_waitcnt vmcnt(11)
	v_dual_mov_b32 v54, v34 :: v_dual_mov_b32 v55, v35
	v_dual_mov_b32 v130, v32 :: v_dual_mov_b32 v131, v33
	;; [unrolled: 1-line block ×5, first 2 shown]
	s_waitcnt vmcnt(9)
	v_dual_mov_b32 v64, v80 :: v_dual_mov_b32 v65, v81
	v_dual_mov_b32 v56, v92 :: v_dual_mov_b32 v57, v93
	;; [unrolled: 1-line block ×3, first 2 shown]
	s_delay_alu instid0(VALU_DEP_3)
	v_dual_mov_b32 v224, v64 :: v_dual_mov_b32 v225, v65
	v_dual_mov_b32 v60, v90 :: v_dual_mov_b32 v61, v91
	;; [unrolled: 1-line block ×4, first 2 shown]
	s_waitcnt vmcnt(4)
	v_dual_mov_b32 v145, v15 :: v_dual_mov_b32 v144, v14
	s_clause 0x7
	scratch_load_b128 v[0:3], off, off offset:384
	scratch_load_b128 v[4:7], off, off offset:400
	;; [unrolled: 1-line block ×8, first 2 shown]
	s_waitcnt vmcnt(2)
	v_dual_mov_b32 v22, v92 :: v_dual_mov_b32 v23, v93
	v_dual_mov_b32 v140, v48 :: v_dual_mov_b32 v141, v49
	;; [unrolled: 1-line block ×13, first 2 shown]
	v_mov_b32_e32 v184, v212
	v_dual_mov_b32 v92, v128 :: v_dual_mov_b32 v93, v129
	s_waitcnt vmcnt(0)
	s_clause 0x7
	scratch_store_b128 off, v[20:23], off offset:1920
	scratch_store_b128 off, v[24:27], off offset:1936
	;; [unrolled: 1-line block ×8, first 2 shown]
	v_dual_mov_b32 v25, v21 :: v_dual_mov_b32 v24, v20
	v_dual_mov_b32 v23, v19 :: v_dual_mov_b32 v22, v18
	s_clause 0x7
	scratch_store_b128 off, v[4:7], off offset:384
	scratch_store_b128 off, v[8:11], off offset:400
	;; [unrolled: 1-line block ×8, first 2 shown]
	v_dual_mov_b32 v22, v148 :: v_dual_mov_b32 v23, v149
	v_dual_mov_b32 v185, v213 :: v_dual_mov_b32 v186, v214
	;; [unrolled: 1-line block ×17, first 2 shown]
	s_clause 0xf
	scratch_store_b128 off, v[10:13], off offset:1536
	scratch_store_b128 off, v[14:17], off offset:1552
	;; [unrolled: 1-line block ×16, first 2 shown]
	v_mov_b32_e32 v215, v243
	v_dual_mov_b32 v149, v23 :: v_dual_mov_b32 v148, v22
	v_dual_mov_b32 v22, v48 :: v_dual_mov_b32 v23, v49
	s_clause 0x17
	scratch_store_b128 off, v[12:15], off offset:1664
	scratch_store_b128 off, v[16:19], off offset:1680
	scratch_store_b128 off, v[20:23], off offset:1696
	scratch_store_b128 off, v[24:27], off offset:1712
	scratch_store_b128 off, v[28:31], off offset:1728
	scratch_store_b128 off, v[32:35], off offset:1744
	scratch_store_b128 off, v[36:39], off offset:1760
	scratch_store_b128 off, v[40:43], off offset:1776
	scratch_store_b128 off, v[38:41], off offset:512
	scratch_store_b128 off, v[42:45], off offset:528
	scratch_store_b128 off, v[46:49], off offset:544
	scratch_store_b128 off, v[50:53], off offset:560
	scratch_store_b128 off, v[54:57], off offset:576
	scratch_store_b128 off, v[58:61], off offset:592
	scratch_store_b128 off, v[62:65], off offset:608
	scratch_store_b128 off, v[66:69], off offset:624
	scratch_store_b128 off, v[82:85], off offset:640
	scratch_store_b128 off, v[86:89], off offset:656
	scratch_store_b128 off, v[90:93], off offset:672
	scratch_store_b128 off, v[94:97], off offset:688
	scratch_store_b128 off, v[98:101], off offset:704
	scratch_store_b128 off, v[102:105], off offset:720
	scratch_store_b128 off, v[106:109], off offset:736
	scratch_store_b128 off, v[110:113], off offset:752
	v_dual_mov_b32 v22, v32 :: v_dual_mov_b32 v23, v33
	v_dual_mov_b32 v24, v34 :: v_dual_mov_b32 v25, v35
	s_clause 0xf
	scratch_store_b128 off, v[22:25], off offset:1152
	scratch_store_b128 off, v[26:29], off offset:1168
	;; [unrolled: 1-line block ×16, first 2 shown]
.LBB18_44:
	s_or_b32 exec_lo, exec_lo, s4
	v_dual_mov_b32 v237, v125 :: v_dual_mov_b32 v236, v124
	v_dual_mov_b32 v129, v91 :: v_dual_mov_b32 v128, v90
	v_cmp_lt_f64_e32 vcc_lo, v[124:125], v[243:244]
	s_mov_b32 s4, exec_lo
	v_dual_mov_b32 v64, v80 :: v_dual_mov_b32 v65, v81
	s_and_b32 s5, s4, vcc_lo
	s_delay_alu instid0(SALU_CYCLE_1)
	s_mov_b32 exec_lo, s5
	s_cbranch_execz .LBB18_46
; %bb.45:
	s_clause 0x7
	scratch_load_b128 v[0:3], off, off
	scratch_load_b128 v[4:7], off, off offset:16
	scratch_load_b128 v[8:11], off, off offset:32
	;; [unrolled: 1-line block ×7, first 2 shown]
	s_waitcnt vmcnt(5)
	v_dual_mov_b32 v8, v124 :: v_dual_mov_b32 v9, v125
	v_dual_mov_b32 v10, v243 :: v_dual_mov_b32 v11, v244
	;; [unrolled: 1-line block ×9, first 2 shown]
	s_waitcnt vmcnt(0)
	s_clause 0x7
	scratch_store_b128 off, v[0:3], off
	scratch_store_b128 off, v[4:7], off offset:16
	scratch_store_b128 off, v[8:11], off offset:32
	;; [unrolled: 1-line block ×7, first 2 shown]
	s_clause 0x7
	scratch_load_b128 v[0:3], off, off offset:768
	scratch_load_b128 v[4:7], off, off offset:784
	;; [unrolled: 1-line block ×8, first 2 shown]
	s_waitcnt vmcnt(6)
	v_dual_mov_b32 v39, v7 :: v_dual_mov_b32 v38, v6
	v_dual_mov_b32 v37, v5 :: v_dual_mov_b32 v36, v4
	;; [unrolled: 1-line block ×4, first 2 shown]
	s_clause 0x7
	scratch_load_b128 v[0:3], off, off offset:1664
	scratch_load_b128 v[4:7], off, off offset:1680
	;; [unrolled: 1-line block ×8, first 2 shown]
	s_waitcnt vmcnt(7)
	v_dual_mov_b32 v3, v35 :: v_dual_mov_b32 v2, v34
	v_dual_mov_b32 v1, v33 :: v_dual_mov_b32 v0, v32
	s_waitcnt vmcnt(6)
	v_dual_mov_b32 v4, v36 :: v_dual_mov_b32 v5, v37
	v_dual_mov_b32 v6, v38 :: v_dual_mov_b32 v7, v39
	;; [unrolled: 1-line block ×14, first 2 shown]
	s_waitcnt vmcnt(5)
	v_dual_mov_b32 v43, v11 :: v_dual_mov_b32 v42, v10
	v_dual_mov_b32 v10, v90 :: v_dual_mov_b32 v11, v91
	s_delay_alu instid0(VALU_DEP_2)
	v_dual_mov_b32 v9, v43 :: v_dual_mov_b32 v8, v42
	s_waitcnt vmcnt(0)
	s_clause 0x7
	scratch_store_b128 off, v[0:3], off offset:512
	scratch_store_b128 off, v[4:7], off offset:528
	;; [unrolled: 1-line block ×8, first 2 shown]
	s_clause 0x7
	scratch_load_b128 v[0:3], off, off offset:1536
	scratch_load_b128 v[4:7], off, off offset:1552
	scratch_load_b128 v[8:11], off, off offset:1568
	scratch_load_b128 v[12:15], off, off offset:1584
	scratch_load_b128 v[16:19], off, off offset:1600
	scratch_load_b128 v[20:23], off, off offset:1616
	scratch_load_b128 v[24:27], off, off offset:1632
	scratch_load_b128 v[28:31], off, off offset:1648
	v_dual_mov_b32 v40, v42 :: v_dual_mov_b32 v41, v43
	v_dual_mov_b32 v60, v42 :: v_dual_mov_b32 v61, v43
	;; [unrolled: 1-line block ×5, first 2 shown]
	s_waitcnt vmcnt(4)
	v_dual_mov_b32 v145, v15 :: v_dual_mov_b32 v144, v14
	s_clause 0x7
	scratch_load_b128 v[0:3], off, off offset:384
	scratch_load_b128 v[4:7], off, off offset:400
	;; [unrolled: 1-line block ×8, first 2 shown]
	s_waitcnt vmcnt(4)
	v_dual_mov_b32 v12, v64 :: v_dual_mov_b32 v13, v65
	v_dual_mov_b32 v15, v145 :: v_dual_mov_b32 v14, v144
	s_waitcnt vmcnt(3)
	v_dual_mov_b32 v16, v228 :: v_dual_mov_b32 v17, v229
	s_waitcnt vmcnt(2)
	v_dual_mov_b32 v22, v90 :: v_dual_mov_b32 v23, v91
	v_dual_mov_b32 v0, v32 :: v_dual_mov_b32 v1, v33
	;; [unrolled: 1-line block ×8, first 2 shown]
	v_mov_b32_e32 v184, v212
	s_waitcnt vmcnt(0)
	s_clause 0x7
	scratch_store_b128 off, v[12:15], off offset:1664
	scratch_store_b128 off, v[16:19], off offset:1680
	;; [unrolled: 1-line block ×8, first 2 shown]
	v_dual_mov_b32 v25, v21 :: v_dual_mov_b32 v24, v20
	v_dual_mov_b32 v23, v19 :: v_dual_mov_b32 v22, v18
	s_clause 0x7
	scratch_store_b128 off, v[4:7], off offset:384
	scratch_store_b128 off, v[8:11], off offset:400
	;; [unrolled: 1-line block ×8, first 2 shown]
	v_dual_mov_b32 v22, v148 :: v_dual_mov_b32 v23, v149
	v_dual_mov_b32 v185, v213 :: v_dual_mov_b32 v186, v214
	v_dual_mov_b32 v187, v215 :: v_dual_mov_b32 v188, v216
	v_dual_mov_b32 v189, v217 :: v_dual_mov_b32 v190, v218
	v_dual_mov_b32 v191, v219 :: v_dual_mov_b32 v192, v220
	v_dual_mov_b32 v193, v221 :: v_dual_mov_b32 v194, v222
	v_dual_mov_b32 v195, v223 :: v_dual_mov_b32 v196, v224
	v_dual_mov_b32 v197, v225 :: v_dual_mov_b32 v198, v226
	v_dual_mov_b32 v199, v227 :: v_dual_mov_b32 v200, v228
	v_dual_mov_b32 v201, v229 :: v_dual_mov_b32 v202, v230
	v_dual_mov_b32 v203, v231 :: v_dual_mov_b32 v204, v232
	v_dual_mov_b32 v205, v233 :: v_dual_mov_b32 v206, v234
	v_dual_mov_b32 v207, v235 :: v_dual_mov_b32 v208, v236
	v_dual_mov_b32 v209, v237 :: v_dual_mov_b32 v210, v238
	v_dual_mov_b32 v211, v239 :: v_dual_mov_b32 v212, v240
	v_dual_mov_b32 v213, v241 :: v_dual_mov_b32 v24, v144
	v_dual_mov_b32 v214, v242 :: v_dual_mov_b32 v25, v145
	s_clause 0xf
	scratch_store_b128 off, v[10:13], off offset:1536
	scratch_store_b128 off, v[14:17], off offset:1552
	;; [unrolled: 1-line block ×16, first 2 shown]
	v_mov_b32_e32 v215, v243
	v_dual_mov_b32 v149, v23 :: v_dual_mov_b32 v148, v22
	v_dual_mov_b32 v22, v32 :: v_dual_mov_b32 v23, v33
	;; [unrolled: 1-line block ×5, first 2 shown]
	s_clause 0xf
	scratch_store_b128 off, v[22:25], off offset:768
	scratch_store_b128 off, v[26:29], off offset:784
	;; [unrolled: 1-line block ×16, first 2 shown]
.LBB18_46:
	s_or_b32 exec_lo, exec_lo, s4
	v_dual_mov_b32 v239, v127 :: v_dual_mov_b32 v238, v126
	v_dual_mov_b32 v22, v64 :: v_dual_mov_b32 v23, v65
	v_cmp_lt_f64_e32 vcc_lo, v[126:127], v[76:77]
	s_clause 0x7
	scratch_store_b128 off, v[10:13], off offset:1280
	scratch_store_b128 off, v[14:17], off offset:1296
	;; [unrolled: 1-line block ×8, first 2 shown]
	s_mov_b32 s4, exec_lo
	v_dual_mov_b32 v48, v92 :: v_dual_mov_b32 v49, v93
	s_and_b32 s5, s4, vcc_lo
	s_delay_alu instid0(SALU_CYCLE_1)
	s_mov_b32 exec_lo, s5
	s_cbranch_execz .LBB18_48
; %bb.47:
	s_clause 0x7
	scratch_load_b128 v[0:3], off, off
	scratch_load_b128 v[4:7], off, off offset:16
	scratch_load_b128 v[8:11], off, off offset:32
	scratch_load_b128 v[12:15], off, off offset:48
	scratch_load_b128 v[16:19], off, off offset:64
	scratch_load_b128 v[20:23], off, off offset:80
	scratch_load_b128 v[24:27], off, off offset:96
	scratch_load_b128 v[28:31], off, off offset:112
	s_waitcnt vmcnt(4)
	v_dual_mov_b32 v12, v126 :: v_dual_mov_b32 v13, v127
	v_dual_mov_b32 v14, v76 :: v_dual_mov_b32 v15, v77
	;; [unrolled: 1-line block ×6, first 2 shown]
	s_waitcnt vmcnt(0)
	s_clause 0x7
	scratch_store_b128 off, v[0:3], off
	scratch_store_b128 off, v[4:7], off offset:16
	scratch_store_b128 off, v[8:11], off offset:32
	scratch_store_b128 off, v[12:15], off offset:48
	scratch_store_b128 off, v[16:19], off offset:64
	scratch_store_b128 off, v[20:23], off offset:80
	scratch_store_b128 off, v[24:27], off offset:96
	scratch_store_b128 off, v[28:31], off offset:112
	s_clause 0x7
	scratch_load_b128 v[0:3], off, off offset:512
	scratch_load_b128 v[4:7], off, off offset:528
	;; [unrolled: 1-line block ×8, first 2 shown]
	s_waitcnt vmcnt(5)
	v_dual_mov_b32 v43, v11 :: v_dual_mov_b32 v42, v10
	v_dual_mov_b32 v41, v9 :: v_dual_mov_b32 v40, v8
	;; [unrolled: 1-line block ×6, first 2 shown]
	s_clause 0x7
	scratch_load_b128 v[0:3], off, off offset:1536
	scratch_load_b128 v[4:7], off, off offset:1552
	;; [unrolled: 1-line block ×8, first 2 shown]
	v_dual_mov_b32 v133, v35 :: v_dual_mov_b32 v132, v34
	v_dual_mov_b32 v131, v33 :: v_dual_mov_b32 v130, v32
	v_dual_mov_b32 v134, v36 :: v_dual_mov_b32 v135, v37
	v_dual_mov_b32 v136, v38 :: v_dual_mov_b32 v137, v39
	v_dual_mov_b32 v138, v40 :: v_dual_mov_b32 v139, v41
	v_dual_mov_b32 v212, v32 :: v_dual_mov_b32 v213, v33
	v_dual_mov_b32 v214, v34 :: v_dual_mov_b32 v215, v35
	v_dual_mov_b32 v216, v36 :: v_dual_mov_b32 v217, v37
	v_dual_mov_b32 v218, v38 :: v_dual_mov_b32 v219, v39
	v_dual_mov_b32 v220, v40 :: v_dual_mov_b32 v221, v41
	v_dual_mov_b32 v222, v42 :: v_dual_mov_b32 v223, v43
	v_dual_mov_b32 v140, v42 :: v_dual_mov_b32 v141, v43
	s_waitcnt vmcnt(4)
	v_dual_mov_b32 v47, v15 :: v_dual_mov_b32 v46, v14
	s_clause 0x7
	scratch_load_b128 v[0:3], off, off offset:384
	scratch_load_b128 v[4:7], off, off offset:400
	;; [unrolled: 1-line block ×8, first 2 shown]
	s_waitcnt vmcnt(5)
	v_dual_mov_b32 v10, v42 :: v_dual_mov_b32 v11, v43
	s_waitcnt vmcnt(4)
	v_dual_mov_b32 v13, v47 :: v_dual_mov_b32 v12, v46
	v_dual_mov_b32 v14, v64 :: v_dual_mov_b32 v15, v65
	s_waitcnt vmcnt(3)
	v_dual_mov_b32 v16, v228 :: v_dual_mov_b32 v17, v229
	s_waitcnt vmcnt(2)
	v_dual_mov_b32 v22, v46 :: v_dual_mov_b32 v23, v47
	v_dual_mov_b32 v0, v32 :: v_dual_mov_b32 v1, v33
	;; [unrolled: 1-line block ×9, first 2 shown]
	s_waitcnt vmcnt(0)
	s_clause 0x7
	scratch_store_b128 off, v[10:13], off offset:1280
	scratch_store_b128 off, v[14:17], off offset:1296
	scratch_store_b128 off, v[18:21], off offset:1312
	scratch_store_b128 off, v[22:25], off offset:1328
	scratch_store_b128 off, v[26:29], off offset:1344
	scratch_store_b128 off, v[30:33], off offset:1360
	scratch_store_b128 off, v[34:37], off offset:1376
	scratch_store_b128 off, v[38:41], off offset:1392
	v_dual_mov_b32 v22, v64 :: v_dual_mov_b32 v23, v65
	s_clause 0x7
	scratch_store_b128 off, v[8:11], off offset:1536
	scratch_store_b128 off, v[12:15], off offset:1552
	;; [unrolled: 1-line block ×8, first 2 shown]
	v_dual_mov_b32 v25, v21 :: v_dual_mov_b32 v24, v20
	v_dual_mov_b32 v23, v19 :: v_dual_mov_b32 v22, v18
	s_clause 0x7
	scratch_store_b128 off, v[4:7], off offset:384
	scratch_store_b128 off, v[8:11], off offset:400
	;; [unrolled: 1-line block ×8, first 2 shown]
	v_dual_mov_b32 v184, v212 :: v_dual_mov_b32 v63, v43
	v_dual_mov_b32 v185, v213 :: v_dual_mov_b32 v186, v214
	;; [unrolled: 1-line block ×22, first 2 shown]
	s_clause 0xf
	scratch_store_b128 off, v[52:55], off offset:512
	scratch_store_b128 off, v[56:59], off offset:528
	;; [unrolled: 1-line block ×16, first 2 shown]
.LBB18_48:
	s_or_b32 exec_lo, exec_lo, s4
	v_dual_mov_b32 v233, v117 :: v_dual_mov_b32 v232, v116
	v_dual_mov_b32 v70, v228 :: v_dual_mov_b32 v71, v229
	s_mov_b32 s4, exec_lo
	v_cmpx_lt_f64_e32 v[116:117], v[78:79]
	s_cbranch_execz .LBB18_50
; %bb.49:
	s_clause 0x7
	scratch_load_b128 v[0:3], off, off
	scratch_load_b128 v[4:7], off, off offset:16
	scratch_load_b128 v[8:11], off, off offset:32
	;; [unrolled: 1-line block ×7, first 2 shown]
	s_waitcnt vmcnt(3)
	v_dual_mov_b32 v16, v116 :: v_dual_mov_b32 v17, v117
	v_dual_mov_b32 v18, v78 :: v_dual_mov_b32 v19, v79
	;; [unrolled: 1-line block ×4, first 2 shown]
	s_waitcnt vmcnt(0)
	s_clause 0x7
	scratch_store_b128 off, v[0:3], off
	scratch_store_b128 off, v[4:7], off offset:16
	scratch_store_b128 off, v[8:11], off offset:32
	;; [unrolled: 1-line block ×7, first 2 shown]
	s_clause 0x7
	scratch_load_b128 v[4:7], off, off offset:384
	scratch_load_b128 v[8:11], off, off offset:400
	;; [unrolled: 1-line block ×8, first 2 shown]
	v_dual_mov_b32 v0, v130 :: v_dual_mov_b32 v1, v131
	v_dual_mov_b32 v2, v132 :: v_dual_mov_b32 v3, v133
	s_waitcnt vmcnt(7)
	v_dual_mov_b32 v4, v134 :: v_dual_mov_b32 v5, v135
	v_dual_mov_b32 v6, v136 :: v_dual_mov_b32 v7, v137
	s_waitcnt vmcnt(6)
	;; [unrolled: 3-line block ×4, first 2 shown]
	v_dual_mov_b32 v18, v228 :: v_dual_mov_b32 v19, v229
	s_waitcnt vmcnt(3)
	v_dual_mov_b32 v146, v22 :: v_dual_mov_b32 v147, v23
	v_dual_mov_b32 v215, v161 :: v_dual_mov_b32 v214, v160
	;; [unrolled: 1-line block ×3, first 2 shown]
	s_waitcnt vmcnt(2)
	v_dual_mov_b32 v20, v24 :: v_dual_mov_b32 v21, v25
	v_dual_mov_b32 v71, v23 :: v_dual_mov_b32 v70, v22
	;; [unrolled: 1-line block ×12, first 2 shown]
	s_waitcnt vmcnt(0)
	s_clause 0x7
	scratch_store_b128 off, v[4:7], off offset:384
	scratch_store_b128 off, v[8:11], off offset:400
	;; [unrolled: 1-line block ×8, first 2 shown]
	v_dual_mov_b32 v213, v159 :: v_dual_mov_b32 v212, v158
	v_dual_mov_b32 v211, v157 :: v_dual_mov_b32 v210, v156
	v_dual_mov_b32 v209, v155 :: v_dual_mov_b32 v208, v154
	v_dual_mov_b32 v207, v153 :: v_dual_mov_b32 v206, v152
	v_dual_mov_b32 v205, v151 :: v_dual_mov_b32 v204, v150
	v_dual_mov_b32 v203, v149 :: v_dual_mov_b32 v202, v148
.LBB18_50:
	s_or_b32 exec_lo, exec_lo, s4
	s_clause 0xf
	scratch_load_b128 v[80:83], off, off offset:256
	scratch_load_b128 v[84:87], off, off offset:272
	;; [unrolled: 1-line block ×16, first 2 shown]
	v_dual_mov_b32 v32, v118 :: v_dual_mov_b32 v33, v119
	s_waitcnt vmcnt(7)
	v_dual_mov_b32 v86, v148 :: v_dual_mov_b32 v87, v149
	s_mov_b32 s4, exec_lo
	s_waitcnt vmcnt(0)
	s_clause 0x7
	scratch_store_b128 off, v[86:89], off offset:1408
	scratch_store_b128 off, v[90:93], off offset:1424
	scratch_store_b128 off, v[94:97], off offset:1440
	scratch_store_b128 off, v[98:101], off offset:1456
	scratch_store_b128 off, v[102:105], off offset:1472
	scratch_store_b128 off, v[106:109], off offset:1488
	scratch_store_b128 off, v[110:113], off offset:1504
	scratch_store_b128 off, v[114:117], off offset:1520
	v_cmpx_lt_f64_e32 v[118:119], v[82:83]
	s_cbranch_execz .LBB18_52
; %bb.51:
	s_clause 0xf
	scratch_load_b128 v[0:3], off, off
	scratch_load_b128 v[4:7], off, off offset:16
	scratch_load_b128 v[8:11], off, off offset:32
	;; [unrolled: 1-line block ×15, first 2 shown]
	v_dual_mov_b32 v46, v148 :: v_dual_mov_b32 v47, v149
	v_dual_mov_b32 v126, v48 :: v_dual_mov_b32 v127, v49
	;; [unrolled: 1-line block ×5, first 2 shown]
	s_waitcnt vmcnt(7)
	v_dual_mov_b32 v2, v82 :: v_dual_mov_b32 v3, v83
	v_dual_mov_b32 v32, v82 :: v_dual_mov_b32 v33, v83
	s_delay_alu instid0(VALU_DEP_2)
	v_dual_mov_b32 v4, v2 :: v_dual_mov_b32 v5, v3
	v_dual_mov_b32 v2, v118 :: v_dual_mov_b32 v3, v119
	s_clause 0x7
	scratch_store_b128 off, v[0:3], off
	scratch_store_b128 off, v[4:7], off offset:16
	scratch_store_b128 off, v[8:11], off offset:32
	;; [unrolled: 1-line block ×7, first 2 shown]
	s_clause 0x17
	scratch_load_b128 v[0:3], off, off offset:1024
	scratch_load_b128 v[4:7], off, off offset:1040
	;; [unrolled: 1-line block ×24, first 2 shown]
	s_waitcnt vmcnt(14)
	v_dual_mov_b32 v154, v148 :: v_dual_mov_b32 v155, v149
	s_waitcnt vmcnt(6)
	v_dual_mov_b32 v166, v148 :: v_dual_mov_b32 v167, v149
	;; [unrolled: 2-line block ×3, first 2 shown]
	v_dual_mov_b32 v81, v1 :: v_dual_mov_b32 v80, v0
	v_dual_mov_b32 v44, v152 :: v_dual_mov_b32 v45, v153
	;; [unrolled: 1-line block ×3, first 2 shown]
	s_delay_alu instid0(VALU_DEP_3) | instskip(SKIP_3) | instid1(VALU_DEP_4)
	v_dual_mov_b32 v42, v80 :: v_dual_mov_b32 v43, v81
	v_dual_mov_b32 v223, v49 :: v_dual_mov_b32 v222, v48
	;; [unrolled: 1-line block ×5, first 2 shown]
	s_clause 0xf
	scratch_load_b128 v[34:37], off, off offset:1280
	scratch_load_b128 v[38:41], off, off offset:1296
	;; [unrolled: 1-line block ×16, first 2 shown]
	v_dual_mov_b32 v150, v80 :: v_dual_mov_b32 v151, v81
	v_dual_mov_b32 v162, v80 :: v_dual_mov_b32 v163, v81
	;; [unrolled: 1-line block ×3, first 2 shown]
	s_clause 0x7
	scratch_load_b128 v[84:87], off, off offset:384
	scratch_load_b128 v[88:91], off, off offset:400
	;; [unrolled: 1-line block ×8, first 2 shown]
	v_dual_mov_b32 v82, v152 :: v_dual_mov_b32 v83, v153
	v_dual_mov_b32 v122, v152 :: v_dual_mov_b32 v123, v153
	s_waitcnt vmcnt(23)
	v_dual_mov_b32 v36, v152 :: v_dual_mov_b32 v37, v153
	s_waitcnt vmcnt(21)
	v_dual_mov_b32 v44, v172 :: v_dual_mov_b32 v45, v173
	v_dual_mov_b32 v132, v152 :: v_dual_mov_b32 v133, v153
	;; [unrolled: 1-line block ×3, first 2 shown]
	s_waitcnt vmcnt(18)
	v_dual_mov_b32 v56, v152 :: v_dual_mov_b32 v57, v153
	s_waitcnt vmcnt(16)
	v_dual_mov_b32 v64, v172 :: v_dual_mov_b32 v65, v173
	;; [unrolled: 2-line block ×4, first 2 shown]
	s_clause 0x7
	scratch_store_b128 off, v[150:153], off offset:896
	scratch_store_b128 off, v[154:157], off offset:912
	;; [unrolled: 1-line block ×8, first 2 shown]
	v_dual_mov_b32 v84, v80 :: v_dual_mov_b32 v85, v81
	v_dual_mov_b32 v92, v128 :: v_dual_mov_b32 v93, v129
	s_waitcnt vmcnt(3)
	v_dual_mov_b32 v100, v70 :: v_dual_mov_b32 v101, v71
	v_dual_mov_b32 v88, v148 :: v_dual_mov_b32 v89, v149
	;; [unrolled: 1-line block ×16, first 2 shown]
	s_clause 0x7
	scratch_load_b128 v[0:3], off, off offset:1408
	scratch_load_b128 v[4:7], off, off offset:1424
	;; [unrolled: 1-line block ×8, first 2 shown]
	v_dual_mov_b32 v66, v46 :: v_dual_mov_b32 v67, v47
	v_dual_mov_b32 v99, v145 :: v_dual_mov_b32 v98, v144
	;; [unrolled: 1-line block ×9, first 2 shown]
	s_waitcnt vmcnt(7)
	v_dual_mov_b32 v0, v152 :: v_dual_mov_b32 v1, v153
	v_dual_mov_b32 v205, v75 :: v_dual_mov_b32 v204, v74
	;; [unrolled: 1-line block ×12, first 2 shown]
	s_waitcnt vmcnt(0)
	s_clause 0x7
	scratch_store_b128 off, v[0:3], off offset:1408
	scratch_store_b128 off, v[4:7], off offset:1424
	scratch_store_b128 off, v[8:11], off offset:1440
	scratch_store_b128 off, v[12:15], off offset:1456
	scratch_store_b128 off, v[16:19], off offset:1472
	scratch_store_b128 off, v[20:23], off offset:1488
	scratch_store_b128 off, v[24:27], off offset:1504
	scratch_store_b128 off, v[28:31], off offset:1520
	v_dual_mov_b32 v2, v148 :: v_dual_mov_b32 v3, v149
	s_clause 0x7
	scratch_store_b128 off, v[0:3], off offset:1920
	scratch_store_b128 off, v[4:7], off offset:1936
	scratch_store_b128 off, v[8:11], off offset:1952
	scratch_store_b128 off, v[12:15], off offset:1968
	scratch_store_b128 off, v[16:19], off offset:1984
	scratch_store_b128 off, v[20:23], off offset:2000
	scratch_store_b128 off, v[24:27], off offset:2016
	scratch_store_b128 off, v[28:31], off offset:2032
	v_dual_mov_b32 v2, v118 :: v_dual_mov_b32 v3, v119
	s_clause 0x7
	scratch_store_b128 off, v[0:3], off offset:256
	scratch_store_b128 off, v[4:7], off offset:272
	scratch_store_b128 off, v[8:11], off offset:288
	scratch_store_b128 off, v[12:15], off offset:304
	scratch_store_b128 off, v[16:19], off offset:320
	scratch_store_b128 off, v[20:23], off offset:336
	scratch_store_b128 off, v[24:27], off offset:352
	scratch_store_b128 off, v[28:31], off offset:368
	v_dual_mov_b32 v18, v102 :: v_dual_mov_b32 v19, v103
	v_dual_mov_b32 v20, v104 :: v_dual_mov_b32 v21, v105
	s_clause 0x7
	scratch_store_b128 off, v[0:3], off offset:384
	scratch_store_b128 off, v[4:7], off offset:400
	;; [unrolled: 1-line block ×8, first 2 shown]
	v_dual_mov_b32 v0, v84 :: v_dual_mov_b32 v1, v85
	v_dual_mov_b32 v22, v106 :: v_dual_mov_b32 v23, v107
	;; [unrolled: 1-line block ×14, first 2 shown]
	s_clause 0x7
	scratch_store_b128 off, v[8:11], off offset:1536
	scratch_store_b128 off, v[12:15], off offset:1552
	;; [unrolled: 1-line block ×8, first 2 shown]
	v_dual_mov_b32 v22, v46 :: v_dual_mov_b32 v23, v47
	v_dual_mov_b32 v2, v86 :: v_dual_mov_b32 v3, v87
	;; [unrolled: 1-line block ×4, first 2 shown]
	s_clause 0xf
	scratch_store_b128 off, v[10:13], off offset:1280
	scratch_store_b128 off, v[14:17], off offset:1296
	;; [unrolled: 1-line block ×16, first 2 shown]
	v_dual_mov_b32 v22, v172 :: v_dual_mov_b32 v23, v173
	s_clause 0xf
	scratch_store_b128 off, v[12:15], off offset:1664
	scratch_store_b128 off, v[16:19], off offset:1680
	;; [unrolled: 1-line block ×16, first 2 shown]
	v_dual_mov_b32 v42, v216 :: v_dual_mov_b32 v43, v217
	v_dual_mov_b32 v44, v218 :: v_dual_mov_b32 v45, v219
	;; [unrolled: 1-line block ×4, first 2 shown]
	s_clause 0xf
	scratch_store_b128 off, v[120:123], off offset:640
	scratch_store_b128 off, v[124:127], off offset:656
	;; [unrolled: 1-line block ×16, first 2 shown]
	v_dual_mov_b32 v22, v80 :: v_dual_mov_b32 v23, v81
	s_clause 0xf
	scratch_store_b128 off, v[22:25], off offset:1024
	scratch_store_b128 off, v[26:29], off offset:1040
	;; [unrolled: 1-line block ×16, first 2 shown]
.LBB18_52:
	s_or_b32 exec_lo, exec_lo, s4
	v_dual_mov_b32 v246, v244 :: v_dual_mov_b32 v245, v243
	v_dual_mov_b32 v121, v49 :: v_dual_mov_b32 v120, v48
	;; [unrolled: 1-line block ×3, first 2 shown]
	v_cmp_lt_f64_e32 vcc_lo, v[243:244], v[234:235]
	s_mov_b32 s4, exec_lo
	s_clause 0x7
	scratch_load_b128 v[88:91], off, off offset:1536
	scratch_load_b128 v[92:95], off, off offset:1552
	;; [unrolled: 1-line block ×8, first 2 shown]
	s_and_b32 s5, s4, vcc_lo
	s_delay_alu instid0(SALU_CYCLE_1)
	s_mov_b32 exec_lo, s5
	s_cbranch_execz .LBB18_54
; %bb.53:
	s_clause 0x7
	scratch_load_b128 v[0:3], off, off
	scratch_load_b128 v[4:7], off, off offset:16
	scratch_load_b128 v[8:11], off, off offset:32
	;; [unrolled: 1-line block ×7, first 2 shown]
	s_waitcnt vmcnt(6)
	v_dual_mov_b32 v6, v243 :: v_dual_mov_b32 v7, v244
	s_waitcnt vmcnt(5)
	v_dual_mov_b32 v8, v234 :: v_dual_mov_b32 v9, v235
	v_dual_mov_b32 v110, v128 :: v_dual_mov_b32 v111, v129
	;; [unrolled: 1-line block ×9, first 2 shown]
	s_waitcnt vmcnt(0)
	s_clause 0x7
	scratch_store_b128 off, v[0:3], off
	scratch_store_b128 off, v[4:7], off offset:16
	scratch_store_b128 off, v[8:11], off offset:32
	;; [unrolled: 1-line block ×7, first 2 shown]
	s_clause 0x7
	scratch_load_b128 v[0:3], off, off offset:896
	scratch_load_b128 v[4:7], off, off offset:912
	;; [unrolled: 1-line block ×8, first 2 shown]
	s_waitcnt vmcnt(6)
	v_dual_mov_b32 v6, v128 :: v_dual_mov_b32 v7, v129
	s_waitcnt vmcnt(5)
	v_dual_mov_b32 v8, v120 :: v_dual_mov_b32 v9, v121
	v_dual_mov_b32 v85, v5 :: v_dual_mov_b32 v84, v4
	;; [unrolled: 1-line block ×4, first 2 shown]
	s_waitcnt vmcnt(0)
	s_clause 0x7
	scratch_store_b128 off, v[0:3], off offset:640
	scratch_store_b128 off, v[4:7], off offset:656
	;; [unrolled: 1-line block ×8, first 2 shown]
	s_clause 0xf
	scratch_load_b128 v[0:3], off, off offset:1664
	scratch_load_b128 v[4:7], off, off offset:1680
	;; [unrolled: 1-line block ×16, first 2 shown]
	s_waitcnt vmcnt(7)
	v_dual_mov_b32 v35, v81 :: v_dual_mov_b32 v34, v80
	v_dual_mov_b32 v36, v82 :: v_dual_mov_b32 v37, v83
	s_waitcnt vmcnt(6)
	v_dual_mov_b32 v38, v84 :: v_dual_mov_b32 v39, v85
	v_dual_mov_b32 v40, v128 :: v_dual_mov_b32 v41, v129
	s_waitcnt vmcnt(5)
	v_dual_mov_b32 v42, v120 :: v_dual_mov_b32 v43, v121
	s_waitcnt vmcnt(2)
	v_dual_mov_b32 v54, v80 :: v_dual_mov_b32 v55, v81
	v_dual_mov_b32 v56, v82 :: v_dual_mov_b32 v57, v83
	s_waitcnt vmcnt(1)
	v_dual_mov_b32 v58, v84 :: v_dual_mov_b32 v59, v85
	;; [unrolled: 3-line block ×3, first 2 shown]
	v_dual_mov_b32 v48, v128 :: v_dual_mov_b32 v49, v129
	v_dual_mov_b32 v104, v80 :: v_dual_mov_b32 v105, v81
	v_dual_mov_b32 v106, v82 :: v_dual_mov_b32 v107, v83
	v_dual_mov_b32 v108, v84 :: v_dual_mov_b32 v109, v85
	v_dual_mov_b32 v88, v80 :: v_dual_mov_b32 v89, v81
	v_dual_mov_b32 v90, v82 :: v_dual_mov_b32 v91, v83
	v_dual_mov_b32 v92, v84 :: v_dual_mov_b32 v93, v85
	v_dual_mov_b32 v115, v11 :: v_dual_mov_b32 v114, v10
	s_clause 0x7
	scratch_load_b128 v[0:3], off, off offset:384
	scratch_load_b128 v[4:7], off, off offset:400
	;; [unrolled: 1-line block ×8, first 2 shown]
	s_waitcnt vmcnt(6)
	v_dual_mov_b32 v4, v84 :: v_dual_mov_b32 v5, v85
	v_dual_mov_b32 v6, v128 :: v_dual_mov_b32 v7, v129
	s_waitcnt vmcnt(5)
	v_dual_mov_b32 v8, v120 :: v_dual_mov_b32 v9, v121
	v_dual_mov_b32 v10, v114 :: v_dual_mov_b32 v11, v115
	;; [unrolled: 3-line block ×4, first 2 shown]
	v_dual_mov_b32 v64, v114 :: v_dual_mov_b32 v65, v115
	v_dual_mov_b32 v66, v46 :: v_dual_mov_b32 v67, v47
	;; [unrolled: 1-line block ×40, first 2 shown]
	s_waitcnt vmcnt(1)
	v_dual_mov_b32 v25, v21 :: v_dual_mov_b32 v24, v20
	v_dual_mov_b32 v23, v19 :: v_dual_mov_b32 v22, v18
	s_waitcnt vmcnt(0)
	s_clause 0x7
	scratch_store_b128 off, v[4:7], off offset:384
	scratch_store_b128 off, v[8:11], off offset:400
	;; [unrolled: 1-line block ×8, first 2 shown]
	v_dual_mov_b32 v22, v46 :: v_dual_mov_b32 v23, v47
	s_clause 0xf
	scratch_store_b128 off, v[10:13], off offset:1280
	scratch_store_b128 off, v[14:17], off offset:1296
	;; [unrolled: 1-line block ×16, first 2 shown]
	v_dual_mov_b32 v22, v114 :: v_dual_mov_b32 v23, v115
	s_clause 0xf
	scratch_store_b128 off, v[12:15], off offset:1664
	scratch_store_b128 off, v[16:19], off offset:1680
	;; [unrolled: 1-line block ×16, first 2 shown]
	v_dual_mov_b32 v22, v80 :: v_dual_mov_b32 v23, v81
	v_dual_mov_b32 v24, v82 :: v_dual_mov_b32 v25, v83
	;; [unrolled: 1-line block ×3, first 2 shown]
	s_clause 0xf
	scratch_store_b128 off, v[22:25], off offset:896
	scratch_store_b128 off, v[26:29], off offset:912
	;; [unrolled: 1-line block ×16, first 2 shown]
.LBB18_54:
	s_or_b32 exec_lo, exec_lo, s4
	s_clause 0x7
	scratch_load_b128 v[38:41], off, off offset:1664
	scratch_load_b128 v[42:45], off, off offset:1680
	;; [unrolled: 1-line block ×8, first 2 shown]
	v_dual_mov_b32 v248, v77 :: v_dual_mov_b32 v247, v76
	s_mov_b32 s4, exec_lo
	s_waitcnt vmcnt(5)
	v_dual_mov_b32 v22, v48 :: v_dual_mov_b32 v23, v49
	s_clause 0x7
	scratch_store_b128 off, v[12:15], off offset:1792
	scratch_store_b128 off, v[16:19], off offset:1808
	;; [unrolled: 1-line block ×8, first 2 shown]
	v_cmpx_lt_f64_e32 v[76:77], v[236:237]
	s_cbranch_execz .LBB18_56
; %bb.55:
	s_clause 0x7
	scratch_load_b128 v[0:3], off, off
	scratch_load_b128 v[4:7], off, off offset:16
	scratch_load_b128 v[8:11], off, off offset:32
	;; [unrolled: 1-line block ×7, first 2 shown]
	s_waitcnt vmcnt(5)
	v_dual_mov_b32 v10, v76 :: v_dual_mov_b32 v11, v77
	s_waitcnt vmcnt(4)
	v_dual_mov_b32 v12, v236 :: v_dual_mov_b32 v13, v237
	v_dual_mov_b32 v100, v48 :: v_dual_mov_b32 v101, v49
	;; [unrolled: 1-line block ×6, first 2 shown]
	s_waitcnt vmcnt(0)
	s_clause 0x7
	scratch_store_b128 off, v[0:3], off
	scratch_store_b128 off, v[4:7], off offset:16
	scratch_store_b128 off, v[8:11], off offset:32
	scratch_store_b128 off, v[12:15], off offset:48
	scratch_store_b128 off, v[16:19], off offset:64
	scratch_store_b128 off, v[20:23], off offset:80
	scratch_store_b128 off, v[24:27], off offset:96
	scratch_store_b128 off, v[28:31], off offset:112
	s_clause 0x7
	scratch_load_b128 v[0:3], off, off offset:640
	scratch_load_b128 v[4:7], off, off offset:656
	;; [unrolled: 1-line block ×8, first 2 shown]
	s_waitcnt vmcnt(5)
	v_dual_mov_b32 v43, v9 :: v_dual_mov_b32 v42, v8
	v_dual_mov_b32 v41, v7 :: v_dual_mov_b32 v40, v6
	;; [unrolled: 1-line block ×5, first 2 shown]
	s_clause 0x7
	scratch_load_b128 v[0:3], off, off offset:1280
	scratch_load_b128 v[4:7], off, off offset:1296
	;; [unrolled: 1-line block ×8, first 2 shown]
	s_waitcnt vmcnt(7)
	v_dual_mov_b32 v3, v37 :: v_dual_mov_b32 v2, v36
	v_dual_mov_b32 v1, v35 :: v_dual_mov_b32 v0, v34
	s_waitcnt vmcnt(6)
	v_dual_mov_b32 v4, v38 :: v_dual_mov_b32 v5, v39
	v_dual_mov_b32 v6, v40 :: v_dual_mov_b32 v7, v41
	;; [unrolled: 3-line block ×3, first 2 shown]
	v_dual_mov_b32 v90, v36 :: v_dual_mov_b32 v91, v37
	v_dual_mov_b32 v92, v38 :: v_dual_mov_b32 v93, v39
	;; [unrolled: 1-line block ×9, first 2 shown]
	s_waitcnt vmcnt(4)
	v_dual_mov_b32 v47, v13 :: v_dual_mov_b32 v46, v12
	v_dual_mov_b32 v12, v48 :: v_dual_mov_b32 v13, v49
	s_delay_alu instid0(VALU_DEP_2)
	v_dual_mov_b32 v11, v47 :: v_dual_mov_b32 v10, v46
	s_waitcnt vmcnt(0)
	s_clause 0x7
	scratch_store_b128 off, v[0:3], off offset:128
	scratch_store_b128 off, v[4:7], off offset:144
	;; [unrolled: 1-line block ×8, first 2 shown]
	s_clause 0x7
	scratch_load_b128 v[0:3], off, off offset:384
	scratch_load_b128 v[4:7], off, off offset:400
	;; [unrolled: 1-line block ×8, first 2 shown]
	s_waitcnt vmcnt(4)
	v_dual_mov_b32 v12, v48 :: v_dual_mov_b32 v13, v49
	v_dual_mov_b32 v14, v102 :: v_dual_mov_b32 v15, v103
	s_waitcnt vmcnt(3)
	v_dual_mov_b32 v16, v70 :: v_dual_mov_b32 v17, v71
	s_waitcnt vmcnt(2)
	v_dual_mov_b32 v22, v46 :: v_dual_mov_b32 v23, v47
	v_dual_mov_b32 v0, v34 :: v_dual_mov_b32 v1, v35
	;; [unrolled: 1-line block ×26, first 2 shown]
	s_waitcnt vmcnt(0)
	s_clause 0x7
	scratch_store_b128 off, v[12:15], off offset:1792
	scratch_store_b128 off, v[16:19], off offset:1808
	;; [unrolled: 1-line block ×8, first 2 shown]
	v_dual_mov_b32 v22, v48 :: v_dual_mov_b32 v23, v49
	s_clause 0x7
	scratch_store_b128 off, v[10:13], off offset:1280
	scratch_store_b128 off, v[14:17], off offset:1296
	;; [unrolled: 1-line block ×8, first 2 shown]
	v_dual_mov_b32 v25, v21 :: v_dual_mov_b32 v24, v20
	v_dual_mov_b32 v23, v19 :: v_dual_mov_b32 v22, v18
	s_clause 0x7
	scratch_store_b128 off, v[4:7], off offset:384
	scratch_store_b128 off, v[8:11], off offset:400
	;; [unrolled: 1-line block ×8, first 2 shown]
	v_dual_mov_b32 v22, v152 :: v_dual_mov_b32 v23, v153
	v_dual_mov_b32 v161, v119 :: v_dual_mov_b32 v160, v118
	;; [unrolled: 1-line block ×3, first 2 shown]
	s_delay_alu instid0(VALU_DEP_3)
	v_dual_mov_b32 v153, v23 :: v_dual_mov_b32 v152, v22
	v_dual_mov_b32 v145, v103 :: v_dual_mov_b32 v144, v102
	;; [unrolled: 1-line block ×20, first 2 shown]
	s_clause 0xf
	scratch_store_b128 off, v[22:25], off offset:640
	scratch_store_b128 off, v[26:29], off offset:656
	;; [unrolled: 1-line block ×16, first 2 shown]
.LBB18_56:
	s_or_b32 exec_lo, exec_lo, s4
	s_waitcnt vmcnt(4)
	v_dual_mov_b32 v52, v78 :: v_dual_mov_b32 v53, v79
	v_dual_mov_b32 v86, v102 :: v_dual_mov_b32 v87, v103
	s_mov_b32 s4, exec_lo
	v_cmpx_lt_f64_e32 v[78:79], v[238:239]
	s_cbranch_execz .LBB18_58
; %bb.57:
	s_clause 0x7
	scratch_load_b128 v[0:3], off, off
	scratch_load_b128 v[4:7], off, off offset:16
	scratch_load_b128 v[8:11], off, off offset:32
	;; [unrolled: 1-line block ×7, first 2 shown]
	s_waitcnt vmcnt(4)
	v_dual_mov_b32 v14, v78 :: v_dual_mov_b32 v15, v79
	s_waitcnt vmcnt(3)
	v_dual_mov_b32 v16, v238 :: v_dual_mov_b32 v17, v239
	v_dual_mov_b32 v34, v152 :: v_dual_mov_b32 v35, v153
	;; [unrolled: 1-line block ×7, first 2 shown]
	s_waitcnt vmcnt(0)
	s_clause 0x7
	scratch_store_b128 off, v[0:3], off
	scratch_store_b128 off, v[4:7], off offset:16
	scratch_store_b128 off, v[8:11], off offset:32
	;; [unrolled: 1-line block ×7, first 2 shown]
	s_clause 0xf
	scratch_load_b128 v[130:133], off, off offset:128
	scratch_load_b128 v[134:137], off, off offset:144
	;; [unrolled: 1-line block ×16, first 2 shown]
	s_waitcnt vmcnt(4)
	v_dual_mov_b32 v14, v70 :: v_dual_mov_b32 v15, v71
	s_waitcnt vmcnt(3)
	v_dual_mov_b32 v16, v102 :: v_dual_mov_b32 v17, v103
	v_dual_mov_b32 v144, v70 :: v_dual_mov_b32 v145, v71
	;; [unrolled: 1-line block ×4, first 2 shown]
	s_waitcnt vmcnt(1)
	v_dual_mov_b32 v25, v21 :: v_dual_mov_b32 v24, v20
	v_dual_mov_b32 v6, v136 :: v_dual_mov_b32 v7, v137
	;; [unrolled: 1-line block ×6, first 2 shown]
	s_waitcnt vmcnt(0)
	s_clause 0x7
	scratch_store_b128 off, v[4:7], off offset:384
	scratch_store_b128 off, v[8:11], off offset:400
	;; [unrolled: 1-line block ×8, first 2 shown]
	v_dual_mov_b32 v54, v130 :: v_dual_mov_b32 v55, v131
	v_dual_mov_b32 v184, v130 :: v_dual_mov_b32 v185, v131
	;; [unrolled: 1-line block ×16, first 2 shown]
	s_clause 0x7
	scratch_store_b128 off, v[54:57], off offset:128
	scratch_store_b128 off, v[58:61], off offset:144
	;; [unrolled: 1-line block ×8, first 2 shown]
	v_dual_mov_b32 v153, v35 :: v_dual_mov_b32 v152, v34
.LBB18_58:
	s_or_b32 exec_lo, exec_lo, s4
	s_clause 0x7
	scratch_load_b128 v[94:97], off, off offset:384
	scratch_load_b128 v[98:101], off, off offset:400
	;; [unrolled: 1-line block ×8, first 2 shown]
	v_dual_mov_b32 v93, v75 :: v_dual_mov_b32 v92, v74
	s_mov_b32 s4, exec_lo
	s_waitcnt vmcnt(2)
	v_dual_mov_b32 v34, v112 :: v_dual_mov_b32 v35, v113
	v_dual_mov_b32 v36, v114 :: v_dual_mov_b32 v37, v115
	s_delay_alu instid0(VALU_DEP_2)
	v_dual_mov_b32 v181, v35 :: v_dual_mov_b32 v180, v34
	v_cmpx_lt_f64_e32 v[74:75], v[232:233]
	s_cbranch_execz .LBB18_60
; %bb.59:
	s_clause 0x7
	scratch_load_b128 v[0:3], off, off
	scratch_load_b128 v[4:7], off, off offset:16
	scratch_load_b128 v[8:11], off, off offset:32
	;; [unrolled: 1-line block ×7, first 2 shown]
	s_waitcnt vmcnt(3)
	v_dual_mov_b32 v18, v74 :: v_dual_mov_b32 v19, v75
	s_waitcnt vmcnt(2)
	v_dual_mov_b32 v20, v232 :: v_dual_mov_b32 v21, v233
	v_dual_mov_b32 v88, v184 :: v_dual_mov_b32 v89, v185
	;; [unrolled: 1-line block ×14, first 2 shown]
	s_waitcnt vmcnt(0)
	s_clause 0x7
	scratch_store_b128 off, v[0:3], off
	scratch_store_b128 off, v[4:7], off offset:16
	scratch_store_b128 off, v[8:11], off offset:32
	;; [unrolled: 1-line block ×7, first 2 shown]
	v_dual_mov_b32 v0, v88 :: v_dual_mov_b32 v1, v89
	v_dual_mov_b32 v2, v90 :: v_dual_mov_b32 v3, v91
	v_dual_mov_b32 v4, v92 :: v_dual_mov_b32 v5, v93
	v_dual_mov_b32 v6, v94 :: v_dual_mov_b32 v7, v95
	v_dual_mov_b32 v8, v96 :: v_dual_mov_b32 v9, v97
	v_dual_mov_b32 v10, v98 :: v_dual_mov_b32 v11, v99
	v_dual_mov_b32 v12, v100 :: v_dual_mov_b32 v13, v101
	v_dual_mov_b32 v14, v102 :: v_dual_mov_b32 v15, v103
	v_dual_mov_b32 v16, v104 :: v_dual_mov_b32 v17, v105
	v_dual_mov_b32 v18, v106 :: v_dual_mov_b32 v19, v107
	v_dual_mov_b32 v20, v108 :: v_dual_mov_b32 v21, v109
	v_dual_mov_b32 v22, v110 :: v_dual_mov_b32 v23, v111
	v_dual_mov_b32 v24, v112 :: v_dual_mov_b32 v25, v113
	v_dual_mov_b32 v26, v114 :: v_dual_mov_b32 v27, v115
	v_dual_mov_b32 v28, v116 :: v_dual_mov_b32 v29, v117
	v_dual_mov_b32 v30, v118 :: v_dual_mov_b32 v31, v119
	v_dual_mov_b32 v92, v232 :: v_dual_mov_b32 v93, v233
	v_dual_mov_b32 v233, v75 :: v_dual_mov_b32 v232, v74
.LBB18_60:
	s_or_b32 exec_lo, exec_lo, s4
	s_clause 0x7
	scratch_load_b128 v[94:97], off, off offset:256
	scratch_load_b128 v[98:101], off, off offset:272
	;; [unrolled: 1-line block ×8, first 2 shown]
	v_dual_mov_b32 v22, v72 :: v_dual_mov_b32 v23, v73
	v_dual_mov_b32 v213, v73 :: v_dual_mov_b32 v212, v72
	;; [unrolled: 1-line block ×3, first 2 shown]
	s_clause 0x7
	scratch_store_b128 off, v[20:23], off offset:1664
	scratch_store_b128 off, v[24:27], off offset:1680
	;; [unrolled: 1-line block ×8, first 2 shown]
	s_waitcnt vmcnt(7)
	v_cmp_lt_f64_e32 vcc_lo, v[96:97], v[212:213]
	s_clause 0x7
	scratch_load_b128 v[94:97], off, off offset:1408
	scratch_load_b128 v[98:101], off, off offset:1424
	;; [unrolled: 1-line block ×8, first 2 shown]
	s_waitcnt vmcnt(7)
	v_dual_mov_b32 v90, v96 :: v_dual_mov_b32 v91, v97
	s_and_saveexec_b32 s4, vcc_lo
	s_cbranch_execz .LBB18_62
; %bb.61:
	s_clause 0x7
	scratch_load_b128 v[0:3], off, off
	scratch_load_b128 v[4:7], off, off offset:16
	scratch_load_b128 v[8:11], off, off offset:32
	;; [unrolled: 1-line block ×7, first 2 shown]
	v_dual_mov_b32 v178, v70 :: v_dual_mov_b32 v183, v89
	v_dual_mov_b32 v60, v152 :: v_dual_mov_b32 v61, v153
	;; [unrolled: 1-line block ×10, first 2 shown]
	v_mov_b32_e32 v171, v129
	v_mov_b32_e32 v177, v87
	s_waitcnt vmcnt(3)
	v_dual_mov_b32 v207, v19 :: v_dual_mov_b32 v206, v18
	v_dual_mov_b32 v205, v17 :: v_dual_mov_b32 v204, v16
	;; [unrolled: 1-line block ×8, first 2 shown]
	s_waitcnt vmcnt(2)
	v_dual_mov_b32 v209, v21 :: v_dual_mov_b32 v208, v20
	s_clause 0x7
	scratch_load_b128 v[0:3], off, off offset:256
	scratch_load_b128 v[4:7], off, off offset:272
	;; [unrolled: 1-line block ×8, first 2 shown]
	v_dual_mov_b32 v215, v193 :: v_dual_mov_b32 v214, v192
	v_dual_mov_b32 v216, v194 :: v_dual_mov_b32 v217, v195
	;; [unrolled: 1-line block ×9, first 2 shown]
	s_waitcnt vmcnt(7)
	v_dual_mov_b32 v49, v3 :: v_dual_mov_b32 v48, v2
	s_clause 0xf
	scratch_load_b128 v[94:97], off, off offset:1408
	scratch_load_b128 v[98:101], off, off offset:1424
	;; [unrolled: 1-line block ×16, first 2 shown]
	s_waitcnt vmcnt(12)
	v_dual_mov_b32 v106, v152 :: v_dual_mov_b32 v107, v153
	v_dual_mov_b32 v211, v49 :: v_dual_mov_b32 v210, v48
	;; [unrolled: 1-line block ×7, first 2 shown]
	s_waitcnt vmcnt(7)
	v_dual_mov_b32 v51, v3 :: v_dual_mov_b32 v50, v2
	s_clause 0x7
	scratch_load_b128 v[0:3], off, off offset:1792
	scratch_load_b128 v[4:7], off, off offset:1808
	scratch_load_b128 v[8:11], off, off offset:1824
	scratch_load_b128 v[12:15], off, off offset:1840
	scratch_load_b128 v[16:19], off, off offset:1856
	scratch_load_b128 v[20:23], off, off offset:1872
	scratch_load_b128 v[24:27], off, off offset:1888
	scratch_load_b128 v[28:31], off, off offset:1904
	v_dual_mov_b32 v54, v94 :: v_dual_mov_b32 v55, v95
	v_dual_mov_b32 v151, v51 :: v_dual_mov_b32 v150, v50
	;; [unrolled: 1-line block ×5, first 2 shown]
	v_mov_b32_e32 v68, v86
	v_dual_mov_b32 v112, v146 :: v_dual_mov_b32 v115, v149
	v_dual_mov_b32 v98, v50 :: v_dual_mov_b32 v99, v51
	;; [unrolled: 1-line block ×10, first 2 shown]
	s_delay_alu instid0(VALU_DEP_2)
	v_dual_mov_b32 v169, v119 :: v_dual_mov_b32 v168, v118
	v_dual_mov_b32 v34, v94 :: v_dual_mov_b32 v35, v95
	;; [unrolled: 1-line block ×8, first 2 shown]
	s_waitcnt vmcnt(5)
	v_dual_mov_b32 v111, v11 :: v_dual_mov_b32 v110, v10
	s_clause 0x7
	scratch_load_b128 v[0:3], off, off offset:1280
	scratch_load_b128 v[4:7], off, off offset:1296
	;; [unrolled: 1-line block ×8, first 2 shown]
	v_dual_mov_b32 v170, v128 :: v_dual_mov_b32 v173, v111
	v_dual_mov_b32 v64, v110 :: v_dual_mov_b32 v65, v111
	;; [unrolled: 1-line block ×4, first 2 shown]
	s_waitcnt vmcnt(4)
	v_dual_mov_b32 v47, v13 :: v_dual_mov_b32 v46, v12
	s_delay_alu instid0(VALU_DEP_1) | instskip(NEXT) | instid1(VALU_DEP_2)
	v_dual_mov_b32 v172, v110 :: v_dual_mov_b32 v175, v47
	v_dual_mov_b32 v66, v46 :: v_dual_mov_b32 v67, v47
	;; [unrolled: 1-line block ×3, first 2 shown]
	v_mov_b32_e32 v174, v46
	s_clause 0xf
	scratch_store_b128 off, v[46:49], off offset:1664
	scratch_store_b128 off, v[50:53], off offset:1680
	;; [unrolled: 1-line block ×8, first 2 shown]
	scratch_store_b128 off, v[210:213], off
	scratch_store_b128 off, v[214:217], off offset:16
	scratch_store_b128 off, v[218:221], off offset:32
	;; [unrolled: 1-line block ×7, first 2 shown]
	v_dual_mov_b32 v161, v103 :: v_dual_mov_b32 v160, v102
	v_dual_mov_b32 v153, v95 :: v_dual_mov_b32 v152, v94
	;; [unrolled: 1-line block ×5, first 2 shown]
	s_waitcnt vmcnt(0)
	s_clause 0x7
	scratch_store_b128 off, v[0:3], off offset:256
	scratch_store_b128 off, v[4:7], off offset:272
	;; [unrolled: 1-line block ×8, first 2 shown]
	v_dual_mov_b32 v0, v162 :: v_dual_mov_b32 v1, v163
	v_dual_mov_b32 v22, v184 :: v_dual_mov_b32 v23, v185
	;; [unrolled: 1-line block ×33, first 2 shown]
	s_clause 0xf
	scratch_store_b128 off, v[10:13], off offset:1280
	scratch_store_b128 off, v[14:17], off offset:1296
	;; [unrolled: 1-line block ×16, first 2 shown]
	v_dual_mov_b32 v22, v110 :: v_dual_mov_b32 v23, v111
	v_dual_mov_b32 v147, v89 :: v_dual_mov_b32 v146, v88
	;; [unrolled: 1-line block ×17, first 2 shown]
	s_clause 0x1f
	scratch_store_b128 off, v[12:15], off offset:1792
	scratch_store_b128 off, v[16:19], off offset:1808
	;; [unrolled: 1-line block ×32, first 2 shown]
	s_clause 0x17
	scratch_store_b128 off, v[94:97], off offset:896
	scratch_store_b128 off, v[98:101], off offset:912
	;; [unrolled: 1-line block ×24, first 2 shown]
	v_dual_mov_b32 v90, v94 :: v_dual_mov_b32 v91, v95
	v_dual_mov_b32 v94, v96 :: v_dual_mov_b32 v95, v97
	s_clause 0x7
	scratch_store_b128 off, v[94:97], off offset:1408
	scratch_store_b128 off, v[98:101], off offset:1424
	;; [unrolled: 1-line block ×8, first 2 shown]
.LBB18_62:
	s_or_b32 exec_lo, exec_lo, s4
	s_clause 0x7
	scratch_load_b128 v[96:99], off, off offset:1920
	scratch_load_b128 v[100:103], off, off offset:1936
	;; [unrolled: 1-line block ×8, first 2 shown]
	v_dual_mov_b32 v94, v234 :: v_dual_mov_b32 v95, v235
	s_mov_b32 s4, exec_lo
	s_waitcnt vmcnt(7)
	v_dual_mov_b32 v34, v98 :: v_dual_mov_b32 v35, v99
	v_dual_mov_b32 v221, v99 :: v_dual_mov_b32 v220, v98
	v_cmpx_lt_f64_e32 v[234:235], v[32:33]
	s_cbranch_execz .LBB18_64
; %bb.63:
	s_clause 0x7
	scratch_load_b128 v[0:3], off, off
	scratch_load_b128 v[4:7], off, off offset:16
	scratch_load_b128 v[8:11], off, off offset:32
	;; [unrolled: 1-line block ×7, first 2 shown]
	s_waitcnt vmcnt(6)
	v_dual_mov_b32 v4, v234 :: v_dual_mov_b32 v5, v235
	v_dual_mov_b32 v6, v32 :: v_dual_mov_b32 v7, v33
	;; [unrolled: 1-line block ×28, first 2 shown]
	s_waitcnt vmcnt(0)
	s_clause 0x7
	scratch_store_b128 off, v[0:3], off
	scratch_store_b128 off, v[4:7], off offset:16
	scratch_store_b128 off, v[8:11], off offset:32
	;; [unrolled: 1-line block ×7, first 2 shown]
	s_clause 0x7
	scratch_load_b128 v[0:3], off, off offset:1152
	scratch_load_b128 v[4:7], off, off offset:1168
	;; [unrolled: 1-line block ×8, first 2 shown]
	s_waitcnt vmcnt(6)
	v_dual_mov_b32 v4, v152 :: v_dual_mov_b32 v5, v153
	v_dual_mov_b32 v6, v48 :: v_dual_mov_b32 v7, v49
	;; [unrolled: 1-line block ×4, first 2 shown]
	s_waitcnt vmcnt(0)
	s_clause 0x7
	scratch_store_b128 off, v[0:3], off offset:768
	scratch_store_b128 off, v[4:7], off offset:784
	;; [unrolled: 1-line block ×8, first 2 shown]
	s_clause 0x7
	scratch_load_b128 v[0:3], off, off offset:1792
	scratch_load_b128 v[4:7], off, off offset:1808
	;; [unrolled: 1-line block ×8, first 2 shown]
	v_dual_mov_b32 v164, v98 :: v_dual_mov_b32 v165, v99
	v_dual_mov_b32 v162, v96 :: v_dual_mov_b32 v163, v97
	;; [unrolled: 1-line block ×12, first 2 shown]
	s_waitcnt vmcnt(5)
	v_dual_mov_b32 v113, v11 :: v_dual_mov_b32 v112, v10
	s_clause 0x7
	scratch_load_b128 v[0:3], off, off offset:1280
	scratch_load_b128 v[4:7], off, off offset:1296
	;; [unrolled: 1-line block ×8, first 2 shown]
	v_dual_mov_b32 v173, v113 :: v_dual_mov_b32 v172, v112
	v_dual_mov_b32 v44, v112 :: v_dual_mov_b32 v45, v113
	;; [unrolled: 1-line block ×4, first 2 shown]
	s_waitcnt vmcnt(4)
	v_dual_mov_b32 v47, v13 :: v_dual_mov_b32 v46, v12
	s_delay_alu instid0(VALU_DEP_1)
	v_dual_mov_b32 v175, v47 :: v_dual_mov_b32 v174, v46
	s_waitcnt vmcnt(0)
	v_dual_mov_b32 v0, v162 :: v_dual_mov_b32 v1, v163
	v_dual_mov_b32 v84, v46 :: v_dual_mov_b32 v85, v47
	v_dual_mov_b32 v22, v184 :: v_dual_mov_b32 v23, v185
	v_dual_mov_b32 v66, v46 :: v_dual_mov_b32 v67, v47
	v_dual_mov_b32 v10, v172 :: v_dual_mov_b32 v11, v173
	v_dual_mov_b32 v12, v174 :: v_dual_mov_b32 v13, v175
	v_dual_mov_b32 v14, v176 :: v_dual_mov_b32 v15, v177
	v_dual_mov_b32 v16, v178 :: v_dual_mov_b32 v17, v179
	v_dual_mov_b32 v18, v180 :: v_dual_mov_b32 v19, v181
	v_dual_mov_b32 v20, v182 :: v_dual_mov_b32 v21, v183
	v_dual_mov_b32 v24, v186 :: v_dual_mov_b32 v25, v187
	v_dual_mov_b32 v26, v188 :: v_dual_mov_b32 v27, v189
	v_dual_mov_b32 v28, v190 :: v_dual_mov_b32 v29, v191
	v_dual_mov_b32 v30, v192 :: v_dual_mov_b32 v31, v193
	v_dual_mov_b32 v22, v46 :: v_dual_mov_b32 v23, v47
	v_dual_mov_b32 v161, v103 :: v_dual_mov_b32 v160, v102
	v_dual_mov_b32 v2, v164 :: v_dual_mov_b32 v3, v165
	v_dual_mov_b32 v4, v166 :: v_dual_mov_b32 v5, v167
	v_dual_mov_b32 v6, v168 :: v_dual_mov_b32 v7, v169
	v_dual_mov_b32 v8, v170 :: v_dual_mov_b32 v9, v171
	v_dual_mov_b32 v215, v85 :: v_dual_mov_b32 v214, v84
	v_dual_mov_b32 v153, v95 :: v_dual_mov_b32 v152, v94
	v_dual_mov_b32 v213, v83 :: v_dual_mov_b32 v212, v82
	v_dual_mov_b32 v211, v81 :: v_dual_mov_b32 v210, v80
	v_dual_mov_b32 v209, v79 :: v_dual_mov_b32 v208, v78
	v_dual_mov_b32 v207, v77 :: v_dual_mov_b32 v206, v76
	v_dual_mov_b32 v205, v75 :: v_dual_mov_b32 v204, v74
	v_dual_mov_b32 v203, v73 :: v_dual_mov_b32 v202, v72
	v_dual_mov_b32 v201, v71 :: v_dual_mov_b32 v200, v70
	v_dual_mov_b32 v199, v69 :: v_dual_mov_b32 v198, v68
	v_dual_mov_b32 v197, v67 :: v_dual_mov_b32 v196, v66
	v_dual_mov_b32 v195, v65 :: v_dual_mov_b32 v194, v64
	v_dual_mov_b32 v193, v63 :: v_dual_mov_b32 v192, v62
	v_dual_mov_b32 v191, v61 :: v_dual_mov_b32 v190, v60
	v_dual_mov_b32 v189, v59 :: v_dual_mov_b32 v188, v58
	v_dual_mov_b32 v187, v57 :: v_dual_mov_b32 v186, v56
	v_dual_mov_b32 v185, v55 :: v_dual_mov_b32 v184, v54
	v_dual_mov_b32 v153, v49 :: v_dual_mov_b32 v152, v48
	s_clause 0xf
	scratch_store_b128 off, v[10:13], off offset:1280
	scratch_store_b128 off, v[14:17], off offset:1296
	;; [unrolled: 1-line block ×16, first 2 shown]
	v_dual_mov_b32 v22, v112 :: v_dual_mov_b32 v23, v113
	v_dual_mov_b32 v151, v93 :: v_dual_mov_b32 v150, v92
	;; [unrolled: 1-line block ×15, first 2 shown]
	s_clause 0x17
	scratch_store_b128 off, v[12:15], off offset:1792
	scratch_store_b128 off, v[16:19], off offset:1808
	scratch_store_b128 off, v[20:23], off offset:1824
	scratch_store_b128 off, v[24:27], off offset:1840
	scratch_store_b128 off, v[28:31], off offset:1856
	scratch_store_b128 off, v[32:35], off offset:1872
	scratch_store_b128 off, v[36:39], off offset:1888
	scratch_store_b128 off, v[40:43], off offset:1904
	scratch_store_b128 off, v[102:105], off offset:512
	scratch_store_b128 off, v[106:109], off offset:528
	scratch_store_b128 off, v[110:113], off offset:544
	scratch_store_b128 off, v[114:117], off offset:560
	scratch_store_b128 off, v[118:121], off offset:576
	scratch_store_b128 off, v[122:125], off offset:592
	scratch_store_b128 off, v[126:129], off offset:608
	scratch_store_b128 off, v[130:133], off offset:624
	scratch_store_b128 off, v[120:123], off offset:640
	scratch_store_b128 off, v[124:127], off offset:656
	scratch_store_b128 off, v[128:131], off offset:672
	scratch_store_b128 off, v[132:135], off offset:688
	scratch_store_b128 off, v[136:139], off offset:704
	scratch_store_b128 off, v[140:143], off offset:720
	scratch_store_b128 off, v[144:147], off offset:736
	scratch_store_b128 off, v[148:151], off offset:752
	v_dual_mov_b32 v22, v96 :: v_dual_mov_b32 v23, v97
	v_dual_mov_b32 v24, v98 :: v_dual_mov_b32 v25, v99
	s_clause 0xf
	scratch_store_b128 off, v[22:25], off offset:1152
	scratch_store_b128 off, v[26:29], off offset:1168
	scratch_store_b128 off, v[30:33], off offset:1184
	scratch_store_b128 off, v[34:37], off offset:1200
	scratch_store_b128 off, v[38:41], off offset:1216
	scratch_store_b128 off, v[42:45], off offset:1232
	scratch_store_b128 off, v[46:49], off offset:1248
	scratch_store_b128 off, v[50:53], off offset:1264
	scratch_store_b128 off, v[96:99], off offset:896
	scratch_store_b128 off, v[100:103], off offset:912
	scratch_store_b128 off, v[104:107], off offset:928
	scratch_store_b128 off, v[108:111], off offset:944
	scratch_store_b128 off, v[112:115], off offset:960
	scratch_store_b128 off, v[116:119], off offset:976
	scratch_store_b128 off, v[120:123], off offset:992
	scratch_store_b128 off, v[124:127], off offset:1008
.LBB18_64:
	s_or_b32 exec_lo, exec_lo, s4
	v_dual_mov_b32 v96, v236 :: v_dual_mov_b32 v97, v237
	v_dual_mov_b32 v22, v128 :: v_dual_mov_b32 v23, v129
	s_mov_b32 s4, exec_lo
	s_clause 0x7
	scratch_store_b128 off, v[14:17], off offset:1536
	scratch_store_b128 off, v[18:21], off offset:1552
	;; [unrolled: 1-line block ×8, first 2 shown]
	v_cmpx_lt_f64_e32 v[236:237], v[245:246]
	s_cbranch_execz .LBB18_66
; %bb.65:
	s_clause 0x7
	scratch_load_b128 v[0:3], off, off
	scratch_load_b128 v[4:7], off, off offset:16
	scratch_load_b128 v[8:11], off, off offset:32
	;; [unrolled: 1-line block ×7, first 2 shown]
	s_waitcnt vmcnt(5)
	v_dual_mov_b32 v8, v236 :: v_dual_mov_b32 v9, v237
	v_dual_mov_b32 v10, v245 :: v_dual_mov_b32 v11, v246
	;; [unrolled: 1-line block ×13, first 2 shown]
	s_waitcnt vmcnt(0)
	s_clause 0x7
	scratch_store_b128 off, v[0:3], off
	scratch_store_b128 off, v[4:7], off offset:16
	scratch_store_b128 off, v[8:11], off offset:32
	;; [unrolled: 1-line block ×7, first 2 shown]
	s_clause 0x7
	scratch_load_b128 v[0:3], off, off offset:768
	scratch_load_b128 v[4:7], off, off offset:784
	;; [unrolled: 1-line block ×8, first 2 shown]
	s_waitcnt vmcnt(6)
	v_dual_mov_b32 v105, v7 :: v_dual_mov_b32 v104, v6
	v_dual_mov_b32 v103, v5 :: v_dual_mov_b32 v102, v4
	;; [unrolled: 1-line block ×4, first 2 shown]
	s_clause 0x7
	scratch_load_b128 v[0:3], off, off offset:1792
	scratch_load_b128 v[4:7], off, off offset:1808
	;; [unrolled: 1-line block ×8, first 2 shown]
	s_waitcnt vmcnt(7)
	v_dual_mov_b32 v3, v101 :: v_dual_mov_b32 v2, v100
	v_dual_mov_b32 v1, v99 :: v_dual_mov_b32 v0, v98
	s_waitcnt vmcnt(6)
	v_dual_mov_b32 v4, v102 :: v_dual_mov_b32 v5, v103
	v_dual_mov_b32 v6, v104 :: v_dual_mov_b32 v7, v105
	;; [unrolled: 1-line block ×18, first 2 shown]
	s_waitcnt vmcnt(5)
	v_dual_mov_b32 v225, v11 :: v_dual_mov_b32 v224, v10
	v_dual_mov_b32 v10, v128 :: v_dual_mov_b32 v11, v129
	s_delay_alu instid0(VALU_DEP_2)
	v_dual_mov_b32 v9, v225 :: v_dual_mov_b32 v8, v224
	s_waitcnt vmcnt(0)
	s_clause 0x7
	scratch_store_b128 off, v[0:3], off offset:512
	scratch_store_b128 off, v[4:7], off offset:528
	;; [unrolled: 1-line block ×8, first 2 shown]
	s_clause 0x7
	scratch_load_b128 v[0:3], off, off offset:1280
	scratch_load_b128 v[4:7], off, off offset:1296
	;; [unrolled: 1-line block ×8, first 2 shown]
	s_waitcnt vmcnt(5)
	v_dual_mov_b32 v8, v224 :: v_dual_mov_b32 v9, v225
	v_dual_mov_b32 v170, v224 :: v_dual_mov_b32 v171, v225
	;; [unrolled: 1-line block ×6, first 2 shown]
	s_waitcnt vmcnt(4)
	v_dual_mov_b32 v47, v13 :: v_dual_mov_b32 v46, v12
	s_waitcnt vmcnt(0)
	s_clause 0x7
	scratch_store_b128 off, v[0:3], off offset:1536
	scratch_store_b128 off, v[4:7], off offset:1552
	scratch_store_b128 off, v[8:11], off offset:1568
	scratch_store_b128 off, v[12:15], off offset:1584
	scratch_store_b128 off, v[16:19], off offset:1600
	scratch_store_b128 off, v[20:23], off offset:1616
	scratch_store_b128 off, v[24:27], off offset:1632
	scratch_store_b128 off, v[28:31], off offset:1648
	v_dual_mov_b32 v10, v128 :: v_dual_mov_b32 v11, v129
	v_dual_mov_b32 v175, v47 :: v_dual_mov_b32 v174, v46
	;; [unrolled: 1-line block ×21, first 2 shown]
	s_clause 0x7
	scratch_store_b128 off, v[0:3], off offset:1792
	scratch_store_b128 off, v[4:7], off offset:1808
	;; [unrolled: 1-line block ×8, first 2 shown]
	v_dual_mov_b32 v0, v162 :: v_dual_mov_b32 v1, v163
	v_dual_mov_b32 v22, v184 :: v_dual_mov_b32 v23, v185
	;; [unrolled: 1-line block ×33, first 2 shown]
	s_clause 0xf
	scratch_store_b128 off, v[10:13], off offset:1280
	scratch_store_b128 off, v[14:17], off offset:1296
	;; [unrolled: 1-line block ×16, first 2 shown]
	v_dual_mov_b32 v22, v98 :: v_dual_mov_b32 v23, v99
	v_dual_mov_b32 v24, v100 :: v_dual_mov_b32 v25, v101
	;; [unrolled: 1-line block ×4, first 2 shown]
	s_clause 0xf
	scratch_store_b128 off, v[22:25], off offset:768
	scratch_store_b128 off, v[26:29], off offset:784
	;; [unrolled: 1-line block ×16, first 2 shown]
.LBB18_66:
	s_or_b32 exec_lo, exec_lo, s4
	s_clause 0x7
	scratch_load_b128 v[98:101], off, off offset:1280
	scratch_load_b128 v[102:105], off, off offset:1296
	;; [unrolled: 1-line block ×8, first 2 shown]
	v_dual_mov_b32 v244, v239 :: v_dual_mov_b32 v243, v238
	s_mov_b32 s4, exec_lo
	s_waitcnt vmcnt(4)
	v_dual_mov_b32 v34, v110 :: v_dual_mov_b32 v35, v111
	v_dual_mov_b32 v22, v110 :: v_dual_mov_b32 v23, v111
	s_clause 0x7
	scratch_store_b128 off, v[10:13], off offset:384
	scratch_store_b128 off, v[14:17], off offset:400
	;; [unrolled: 1-line block ×8, first 2 shown]
	v_cmpx_lt_f64_e32 v[238:239], v[247:248]
	s_cbranch_execz .LBB18_68
; %bb.67:
	s_clause 0x7
	scratch_load_b128 v[0:3], off, off
	scratch_load_b128 v[4:7], off, off offset:16
	scratch_load_b128 v[8:11], off, off offset:32
	;; [unrolled: 1-line block ×7, first 2 shown]
	s_waitcnt vmcnt(4)
	v_dual_mov_b32 v12, v238 :: v_dual_mov_b32 v13, v239
	v_dual_mov_b32 v14, v247 :: v_dual_mov_b32 v15, v248
	;; [unrolled: 1-line block ×13, first 2 shown]
	s_waitcnt vmcnt(0)
	s_clause 0x7
	scratch_store_b128 off, v[0:3], off
	scratch_store_b128 off, v[4:7], off offset:16
	scratch_store_b128 off, v[8:11], off offset:32
	;; [unrolled: 1-line block ×7, first 2 shown]
	s_clause 0x7
	scratch_load_b128 v[0:3], off, off offset:512
	scratch_load_b128 v[4:7], off, off offset:528
	;; [unrolled: 1-line block ×8, first 2 shown]
	s_waitcnt vmcnt(4)
	v_dual_mov_b32 v12, v86 :: v_dual_mov_b32 v13, v87
	v_dual_mov_b32 v87, v35 :: v_dual_mov_b32 v86, v34
	;; [unrolled: 1-line block ×9, first 2 shown]
	s_delay_alu instid0(VALU_DEP_3) | instskip(NEXT) | instid1(VALU_DEP_3)
	v_dual_mov_b32 v166, v76 :: v_dual_mov_b32 v167, v77
	v_dual_mov_b32 v164, v74 :: v_dual_mov_b32 v165, v75
	v_dual_mov_b32 v168, v78 :: v_dual_mov_b32 v169, v79
	v_dual_mov_b32 v170, v80 :: v_dual_mov_b32 v171, v81
	v_dual_mov_b32 v172, v82 :: v_dual_mov_b32 v173, v83
	v_dual_mov_b32 v54, v72 :: v_dual_mov_b32 v55, v73
	v_dual_mov_b32 v56, v74 :: v_dual_mov_b32 v57, v75
	v_dual_mov_b32 v58, v76 :: v_dual_mov_b32 v59, v77
	v_dual_mov_b32 v60, v78 :: v_dual_mov_b32 v61, v79
	v_dual_mov_b32 v62, v80 :: v_dual_mov_b32 v63, v81
	v_dual_mov_b32 v64, v82 :: v_dual_mov_b32 v65, v83
	s_waitcnt vmcnt(0)
	s_clause 0x7
	scratch_store_b128 off, v[0:3], off offset:384
	scratch_store_b128 off, v[4:7], off offset:400
	;; [unrolled: 1-line block ×8, first 2 shown]
	v_dual_mov_b32 v0, v162 :: v_dual_mov_b32 v1, v163
	v_dual_mov_b32 v2, v164 :: v_dual_mov_b32 v3, v165
	;; [unrolled: 1-line block ×44, first 2 shown]
	s_clause 0xf
	scratch_store_b128 off, v[34:37], off offset:512
	scratch_store_b128 off, v[38:41], off offset:528
	;; [unrolled: 1-line block ×16, first 2 shown]
.LBB18_68:
	s_or_b32 exec_lo, exec_lo, s4
	v_dual_mov_b32 v239, v233 :: v_dual_mov_b32 v238, v232
	s_waitcnt vmcnt(2)
	v_dual_mov_b32 v119, v89 :: v_dual_mov_b32 v118, v88
	v_dual_mov_b32 v115, v71 :: v_dual_mov_b32 v114, v70
	s_mov_b32 s4, exec_lo
	v_cmpx_lt_f64_e32 v[232:233], v[52:53]
	s_cbranch_execz .LBB18_70
; %bb.69:
	s_clause 0x7
	scratch_load_b128 v[0:3], off, off
	scratch_load_b128 v[4:7], off, off offset:16
	scratch_load_b128 v[8:11], off, off offset:32
	scratch_load_b128 v[12:15], off, off offset:48
	scratch_load_b128 v[16:19], off, off offset:64
	scratch_load_b128 v[20:23], off, off offset:80
	scratch_load_b128 v[24:27], off, off offset:96
	scratch_load_b128 v[28:31], off, off offset:112
	s_waitcnt vmcnt(3)
	v_dual_mov_b32 v16, v232 :: v_dual_mov_b32 v17, v233
	v_dual_mov_b32 v18, v52 :: v_dual_mov_b32 v19, v53
	;; [unrolled: 1-line block ×15, first 2 shown]
	s_delay_alu instid0(VALU_DEP_3)
	v_dual_mov_b32 v201, v147 :: v_dual_mov_b32 v200, v146
	v_dual_mov_b32 v197, v143 :: v_dual_mov_b32 v196, v142
	;; [unrolled: 1-line block ×16, first 2 shown]
	s_waitcnt vmcnt(0)
	s_clause 0x7
	scratch_store_b128 off, v[0:3], off
	scratch_store_b128 off, v[4:7], off offset:16
	scratch_store_b128 off, v[8:11], off offset:32
	;; [unrolled: 1-line block ×7, first 2 shown]
	v_dual_mov_b32 v0, v98 :: v_dual_mov_b32 v1, v99
	v_dual_mov_b32 v2, v100 :: v_dual_mov_b32 v3, v101
	;; [unrolled: 1-line block ×18, first 2 shown]
.LBB18_70:
	s_or_b32 exec_lo, exec_lo, s4
	s_clause 0x7
	scratch_load_b128 v[54:57], off, off offset:256
	scratch_load_b128 v[58:61], off, off offset:272
	;; [unrolled: 1-line block ×8, first 2 shown]
	v_dual_mov_b32 v242, v33 :: v_dual_mov_b32 v241, v32
	s_waitcnt vmcnt(7)
	v_cmp_lt_f64_e32 vcc_lo, v[32:33], v[56:57]
	s_clause 0x7
	scratch_load_b128 v[54:57], off, off offset:1408
	scratch_load_b128 v[58:61], off, off offset:1424
	;; [unrolled: 1-line block ×8, first 2 shown]
	s_waitcnt vmcnt(7)
	v_dual_mov_b32 v46, v54 :: v_dual_mov_b32 v47, v55
	v_dual_mov_b32 v89, v55 :: v_dual_mov_b32 v88, v54
	s_and_saveexec_b32 s4, vcc_lo
	s_cbranch_execz .LBB18_72
; %bb.71:
	s_clause 0xf
	scratch_load_b128 v[0:3], off, off
	scratch_load_b128 v[4:7], off, off offset:16
	scratch_load_b128 v[8:11], off, off offset:32
	;; [unrolled: 1-line block ×15, first 2 shown]
	v_dual_mov_b32 v222, v46 :: v_dual_mov_b32 v223, v47
	v_dual_mov_b32 v226, v220 :: v_dual_mov_b32 v227, v221
	;; [unrolled: 1-line block ×19, first 2 shown]
	s_waitcnt vmcnt(7)
	v_dual_mov_b32 v2, v56 :: v_dual_mov_b32 v3, v57
	v_dual_mov_b32 v242, v57 :: v_dual_mov_b32 v241, v56
	s_delay_alu instid0(VALU_DEP_2)
	v_dual_mov_b32 v4, v2 :: v_dual_mov_b32 v5, v3
	v_dual_mov_b32 v2, v32 :: v_dual_mov_b32 v3, v33
	s_clause 0x7
	scratch_store_b128 off, v[0:3], off
	scratch_store_b128 off, v[4:7], off offset:16
	scratch_store_b128 off, v[8:11], off offset:32
	;; [unrolled: 1-line block ×7, first 2 shown]
	s_clause 0xf
	scratch_load_b128 v[0:3], off, off offset:1024
	scratch_load_b128 v[4:7], off, off offset:1040
	;; [unrolled: 1-line block ×16, first 2 shown]
	s_waitcnt vmcnt(7)
	v_dual_mov_b32 v56, v220 :: v_dual_mov_b32 v57, v221
	s_waitcnt vmcnt(2)
	v_dual_mov_b32 v74, v220 :: v_dual_mov_b32 v75, v221
	v_dual_mov_b32 v58, v46 :: v_dual_mov_b32 v59, v47
	;; [unrolled: 1-line block ×4, first 2 shown]
	s_waitcnt vmcnt(1)
	v_dual_mov_b32 v78, v152 :: v_dual_mov_b32 v79, v153
	v_dual_mov_b32 v49, v1 :: v_dual_mov_b32 v48, v0
	s_clause 0x7
	scratch_load_b128 v[0:3], off, off offset:1792
	scratch_load_b128 v[4:7], off, off offset:1808
	;; [unrolled: 1-line block ×8, first 2 shown]
	v_dual_mov_b32 v232, v62 :: v_dual_mov_b32 v233, v63
	v_dual_mov_b32 v219, v49 :: v_dual_mov_b32 v218, v48
	;; [unrolled: 1-line block ×6, first 2 shown]
	s_delay_alu instid0(VALU_DEP_3) | instskip(SKIP_3) | instid1(VALU_DEP_3)
	v_dual_mov_b32 v64, v146 :: v_dual_mov_b32 v65, v147
	v_dual_mov_b32 v70, v152 :: v_dual_mov_b32 v71, v153
	;; [unrolled: 1-line block ×12, first 2 shown]
	s_waitcnt vmcnt(5)
	v_dual_mov_b32 v45, v11 :: v_dual_mov_b32 v44, v10
	s_clause 0x7
	scratch_load_b128 v[0:3], off, off offset:384
	scratch_load_b128 v[4:7], off, off offset:400
	scratch_load_b128 v[8:11], off, off offset:416
	scratch_load_b128 v[12:15], off, off offset:432
	scratch_load_b128 v[16:19], off, off offset:448
	scratch_load_b128 v[20:23], off, off offset:464
	scratch_load_b128 v[24:27], off, off offset:480
	scratch_load_b128 v[28:31], off, off offset:496
	s_waitcnt vmcnt(7)
	v_dual_mov_b32 v2, v32 :: v_dual_mov_b32 v3, v33
	v_dual_mov_b32 v235, v45 :: v_dual_mov_b32 v234, v44
	;; [unrolled: 1-line block ×5, first 2 shown]
	s_waitcnt vmcnt(4)
	v_dual_mov_b32 v237, v13 :: v_dual_mov_b32 v236, v12
	s_delay_alu instid0(VALU_DEP_1)
	v_dual_mov_b32 v85, v237 :: v_dual_mov_b32 v84, v236
	v_dual_mov_b32 v110, v236 :: v_dual_mov_b32 v111, v237
	;; [unrolled: 1-line block ×3, first 2 shown]
	s_clause 0x7
	scratch_store_b128 off, v[218:221], off offset:896
	scratch_store_b128 off, v[222:225], off offset:912
	;; [unrolled: 1-line block ×8, first 2 shown]
	s_waitcnt vmcnt(0)
	s_clause 0x7
	scratch_store_b128 off, v[0:3], off offset:256
	scratch_store_b128 off, v[4:7], off offset:272
	;; [unrolled: 1-line block ×8, first 2 shown]
	v_dual_mov_b32 v0, v162 :: v_dual_mov_b32 v1, v163
	v_dual_mov_b32 v22, v184 :: v_dual_mov_b32 v23, v185
	;; [unrolled: 1-line block ×33, first 2 shown]
	s_clause 0xf
	scratch_store_b128 off, v[10:13], off offset:384
	scratch_store_b128 off, v[14:17], off offset:400
	;; [unrolled: 1-line block ×16, first 2 shown]
	v_dual_mov_b32 v88, v220 :: v_dual_mov_b32 v89, v221
	v_dual_mov_b32 v22, v44 :: v_dual_mov_b32 v23, v45
	;; [unrolled: 1-line block ×23, first 2 shown]
	s_clause 0xf
	scratch_store_b128 off, v[12:15], off offset:1792
	scratch_store_b128 off, v[16:19], off offset:1808
	;; [unrolled: 1-line block ×16, first 2 shown]
	v_dual_mov_b32 v22, v62 :: v_dual_mov_b32 v23, v63
	s_clause 0x17
	scratch_store_b128 off, v[14:17], off offset:1536
	scratch_store_b128 off, v[18:21], off offset:1552
	;; [unrolled: 1-line block ×24, first 2 shown]
	v_dual_mov_b32 v22, v48 :: v_dual_mov_b32 v23, v49
	s_clause 0xf
	scratch_store_b128 off, v[22:25], off offset:1024
	scratch_store_b128 off, v[26:29], off offset:1040
	;; [unrolled: 1-line block ×16, first 2 shown]
.LBB18_72:
	s_or_b32 exec_lo, exec_lo, s4
	v_dual_mov_b32 v218, v245 :: v_dual_mov_b32 v219, v246
	v_dual_mov_b32 v126, v152 :: v_dual_mov_b32 v127, v153
	v_cmp_lt_f64_e32 vcc_lo, v[245:246], v[94:95]
	s_mov_b32 s4, exec_lo
	s_clause 0x7
	scratch_load_b128 v[54:57], off, off offset:1792
	scratch_load_b128 v[58:61], off, off offset:1808
	;; [unrolled: 1-line block ×8, first 2 shown]
	s_and_b32 s5, s4, vcc_lo
	s_delay_alu instid0(SALU_CYCLE_1)
	s_mov_b32 exec_lo, s5
	s_cbranch_execz .LBB18_74
; %bb.73:
	s_clause 0x7
	scratch_load_b128 v[0:3], off, off
	scratch_load_b128 v[4:7], off, off offset:16
	scratch_load_b128 v[8:11], off, off offset:32
	;; [unrolled: 1-line block ×7, first 2 shown]
	s_waitcnt vmcnt(6)
	v_dual_mov_b32 v6, v245 :: v_dual_mov_b32 v7, v246
	s_waitcnt vmcnt(5)
	v_dual_mov_b32 v8, v94 :: v_dual_mov_b32 v9, v95
	v_dual_mov_b32 v62, v152 :: v_dual_mov_b32 v63, v153
	;; [unrolled: 1-line block ×10, first 2 shown]
	s_waitcnt vmcnt(0)
	s_clause 0x7
	scratch_store_b128 off, v[0:3], off
	scratch_store_b128 off, v[4:7], off offset:16
	scratch_store_b128 off, v[8:11], off offset:32
	;; [unrolled: 1-line block ×7, first 2 shown]
	s_clause 0x7
	scratch_load_b128 v[0:3], off, off offset:896
	scratch_load_b128 v[4:7], off, off offset:912
	;; [unrolled: 1-line block ×8, first 2 shown]
	s_waitcnt vmcnt(6)
	v_dual_mov_b32 v37, v5 :: v_dual_mov_b32 v36, v4
	v_dual_mov_b32 v35, v3 :: v_dual_mov_b32 v34, v2
	;; [unrolled: 1-line block ×3, first 2 shown]
	s_clause 0x7
	scratch_load_b128 v[0:3], off, off offset:1536
	scratch_load_b128 v[4:7], off, off offset:1552
	;; [unrolled: 1-line block ×8, first 2 shown]
	s_waitcnt vmcnt(7)
	v_dual_mov_b32 v3, v35 :: v_dual_mov_b32 v2, v34
	v_dual_mov_b32 v1, v33 :: v_dual_mov_b32 v0, v32
	s_waitcnt vmcnt(6)
	v_dual_mov_b32 v4, v36 :: v_dual_mov_b32 v5, v37
	v_dual_mov_b32 v54, v32 :: v_dual_mov_b32 v55, v33
	;; [unrolled: 1-line block ×10, first 2 shown]
	s_waitcnt vmcnt(5)
	v_dual_mov_b32 v11, v9 :: v_dual_mov_b32 v10, v8
	v_dual_mov_b32 v8, v152 :: v_dual_mov_b32 v9, v153
	s_delay_alu instid0(VALU_DEP_2)
	v_dual_mov_b32 v7, v11 :: v_dual_mov_b32 v6, v10
	v_dual_mov_b32 v38, v10 :: v_dual_mov_b32 v39, v11
	s_waitcnt vmcnt(0)
	s_clause 0x7
	scratch_store_b128 off, v[0:3], off offset:640
	scratch_store_b128 off, v[4:7], off offset:656
	;; [unrolled: 1-line block ×8, first 2 shown]
	v_dual_mov_b32 v8, v152 :: v_dual_mov_b32 v9, v153
	v_dual_mov_b32 v60, v10 :: v_dual_mov_b32 v61, v11
	;; [unrolled: 1-line block ×4, first 2 shown]
	s_delay_alu instid0(VALU_DEP_3)
	v_dual_mov_b32 v229, v61 :: v_dual_mov_b32 v228, v60
	v_dual_mov_b32 v227, v59 :: v_dual_mov_b32 v226, v58
	;; [unrolled: 1-line block ×4, first 2 shown]
	s_clause 0x7
	scratch_load_b128 v[54:57], off, off offset:384
	scratch_load_b128 v[58:61], off, off offset:400
	;; [unrolled: 1-line block ×8, first 2 shown]
	v_dual_mov_b32 v172, v232 :: v_dual_mov_b32 v173, v233
	s_waitcnt vmcnt(6)
	v_dual_mov_b32 v60, v10 :: v_dual_mov_b32 v61, v11
	s_waitcnt vmcnt(1)
	v_dual_mov_b32 v78, v10 :: v_dual_mov_b32 v79, v11
	v_dual_mov_b32 v104, v10 :: v_dual_mov_b32 v105, v11
	;; [unrolled: 1-line block ×4, first 2 shown]
	s_clause 0x7
	scratch_store_b128 off, v[0:3], off offset:1536
	scratch_store_b128 off, v[4:7], off offset:1552
	;; [unrolled: 1-line block ×8, first 2 shown]
	v_dual_mov_b32 v72, v32 :: v_dual_mov_b32 v73, v33
	v_dual_mov_b32 v74, v34 :: v_dual_mov_b32 v75, v35
	;; [unrolled: 1-line block ×4, first 2 shown]
	s_waitcnt vmcnt(0)
	v_dual_mov_b32 v82, v232 :: v_dual_mov_b32 v83, v233
	v_dual_mov_b32 v54, v32 :: v_dual_mov_b32 v55, v33
	;; [unrolled: 1-line block ×39, first 2 shown]
	s_clause 0xf
	scratch_store_b128 off, v[10:13], off offset:384
	scratch_store_b128 off, v[14:17], off offset:400
	;; [unrolled: 1-line block ×16, first 2 shown]
	v_dual_mov_b32 v54, v222 :: v_dual_mov_b32 v55, v223
	v_dual_mov_b32 v56, v224 :: v_dual_mov_b32 v57, v225
	;; [unrolled: 1-line block ×26, first 2 shown]
	s_clause 0x7
	scratch_store_b128 off, v[54:57], off offset:512
	scratch_store_b128 off, v[58:61], off offset:528
	;; [unrolled: 1-line block ×8, first 2 shown]
	v_dual_mov_b32 v22, v32 :: v_dual_mov_b32 v23, v33
	v_dual_mov_b32 v24, v34 :: v_dual_mov_b32 v25, v35
	;; [unrolled: 1-line block ×3, first 2 shown]
	s_clause 0xf
	scratch_store_b128 off, v[22:25], off offset:896
	scratch_store_b128 off, v[26:29], off offset:912
	;; [unrolled: 1-line block ×16, first 2 shown]
.LBB18_74:
	s_or_b32 exec_lo, exec_lo, s4
	v_dual_mov_b32 v231, v115 :: v_dual_mov_b32 v230, v114
	v_dual_mov_b32 v235, v119 :: v_dual_mov_b32 v234, v118
	;; [unrolled: 1-line block ×3, first 2 shown]
	s_waitcnt vmcnt(5)
	v_dual_mov_b32 v42, v64 :: v_dual_mov_b32 v43, v65
	s_mov_b32 s4, exec_lo
	v_cmpx_lt_f64_e32 v[247:248], v[96:97]
	s_cbranch_execz .LBB18_76
; %bb.75:
	s_clause 0x7
	scratch_load_b128 v[0:3], off, off
	scratch_load_b128 v[4:7], off, off offset:16
	scratch_load_b128 v[8:11], off, off offset:32
	;; [unrolled: 1-line block ×7, first 2 shown]
	s_waitcnt vmcnt(5)
	v_dual_mov_b32 v10, v247 :: v_dual_mov_b32 v11, v248
	s_waitcnt vmcnt(4)
	v_dual_mov_b32 v12, v96 :: v_dual_mov_b32 v13, v97
	v_dual_mov_b32 v32, v64 :: v_dual_mov_b32 v33, v65
	v_dual_mov_b32 v210, v230 :: v_dual_mov_b32 v211, v231
	v_dual_mov_b32 v214, v234 :: v_dual_mov_b32 v215, v235
	s_delay_alu instid0(VALU_DEP_3) | instskip(SKIP_1) | instid1(VALU_DEP_4)
	v_dual_mov_b32 v174, v32 :: v_dual_mov_b32 v175, v33
	v_dual_mov_b32 v176, v86 :: v_dual_mov_b32 v177, v87
	;; [unrolled: 1-line block ×3, first 2 shown]
	s_delay_alu instid0(VALU_DEP_4)
	v_dual_mov_b32 v182, v214 :: v_dual_mov_b32 v183, v215
	v_dual_mov_b32 v229, v97 :: v_dual_mov_b32 v228, v96
	;; [unrolled: 1-line block ×5, first 2 shown]
	s_waitcnt vmcnt(0)
	s_clause 0x7
	scratch_store_b128 off, v[0:3], off
	scratch_store_b128 off, v[4:7], off offset:16
	scratch_store_b128 off, v[8:11], off offset:32
	;; [unrolled: 1-line block ×7, first 2 shown]
	s_clause 0xf
	scratch_load_b128 v[54:57], off, off offset:640
	scratch_load_b128 v[58:61], off, off offset:656
	;; [unrolled: 1-line block ×16, first 2 shown]
	s_waitcnt vmcnt(8)
	v_dual_mov_b32 v84, v32 :: v_dual_mov_b32 v85, v33
	s_waitcnt vmcnt(7)
	v_dual_mov_b32 v0, v54 :: v_dual_mov_b32 v1, v55
	v_dual_mov_b32 v2, v56 :: v_dual_mov_b32 v3, v57
	s_waitcnt vmcnt(6)
	v_dual_mov_b32 v4, v58 :: v_dual_mov_b32 v5, v59
	;; [unrolled: 3-line block ×3, first 2 shown]
	v_dual_mov_b32 v8, v62 :: v_dual_mov_b32 v9, v63
	v_dual_mov_b32 v12, v32 :: v_dual_mov_b32 v13, v33
	s_delay_alu instid0(VALU_DEP_3)
	v_dual_mov_b32 v10, v236 :: v_dual_mov_b32 v11, v237
	v_dual_mov_b32 v162, v54 :: v_dual_mov_b32 v163, v55
	s_waitcnt vmcnt(0)
	s_clause 0x7
	scratch_store_b128 off, v[0:3], off offset:128
	scratch_store_b128 off, v[4:7], off offset:144
	;; [unrolled: 1-line block ×8, first 2 shown]
	v_dual_mov_b32 v12, v32 :: v_dual_mov_b32 v13, v33
	v_dual_mov_b32 v194, v54 :: v_dual_mov_b32 v195, v55
	;; [unrolled: 1-line block ×20, first 2 shown]
	s_clause 0x7
	scratch_store_b128 off, v[0:3], off offset:384
	scratch_store_b128 off, v[4:7], off offset:400
	;; [unrolled: 1-line block ×8, first 2 shown]
	v_dual_mov_b32 v0, v162 :: v_dual_mov_b32 v1, v163
	v_dual_mov_b32 v22, v184 :: v_dual_mov_b32 v23, v185
	;; [unrolled: 1-line block ×53, first 2 shown]
	s_clause 0xf
	scratch_store_b128 off, v[22:25], off offset:640
	scratch_store_b128 off, v[26:29], off offset:656
	;; [unrolled: 1-line block ×16, first 2 shown]
.LBB18_76:
	s_or_b32 exec_lo, exec_lo, s4
	v_dual_mov_b32 v217, v53 :: v_dual_mov_b32 v216, v52
	s_waitcnt vmcnt(0)
	v_dual_mov_b32 v82, v86 :: v_dual_mov_b32 v83, v87
	s_mov_b32 s4, exec_lo
	v_cmpx_lt_f64_e32 v[52:53], v[243:244]
	s_cbranch_execz .LBB18_78
; %bb.77:
	s_clause 0xf
	scratch_load_b128 v[130:133], off, off offset:128
	scratch_load_b128 v[134:137], off, off offset:144
	;; [unrolled: 1-line block ×8, first 2 shown]
	scratch_load_b128 v[0:3], off, off
	scratch_load_b128 v[4:7], off, off offset:16
	scratch_load_b128 v[8:11], off, off offset:32
	;; [unrolled: 1-line block ×7, first 2 shown]
	v_dual_mov_b32 v36, v234 :: v_dual_mov_b32 v37, v235
	v_dual_mov_b32 v32, v230 :: v_dual_mov_b32 v33, v231
	s_waitcnt vmcnt(4)
	v_dual_mov_b32 v14, v52 :: v_dual_mov_b32 v15, v53
	s_waitcnt vmcnt(3)
	v_dual_mov_b32 v16, v243 :: v_dual_mov_b32 v17, v244
	v_dual_mov_b32 v82, v230 :: v_dual_mov_b32 v83, v231
	v_dual_mov_b32 v182, v36 :: v_dual_mov_b32 v231, v87
	v_dual_mov_b32 v176, v32 :: v_dual_mov_b32 v177, v33
	v_dual_mov_b32 v178, v86 :: v_dual_mov_b32 v179, v87
	v_dual_mov_b32 v230, v86 :: v_dual_mov_b32 v183, v37
	v_dual_mov_b32 v144, v32 :: v_dual_mov_b32 v145, v33
	v_dual_mov_b32 v198, v32 :: v_dual_mov_b32 v199, v33
	v_dual_mov_b32 v200, v86 :: v_dual_mov_b32 v201, v87
	v_dual_mov_b32 v216, v243 :: v_dual_mov_b32 v217, v244
	v_dual_mov_b32 v244, v53 :: v_dual_mov_b32 v243, v52
	s_waitcnt vmcnt(0)
	s_clause 0x7
	scratch_store_b128 off, v[0:3], off
	scratch_store_b128 off, v[4:7], off offset:16
	scratch_store_b128 off, v[8:11], off offset:32
	scratch_store_b128 off, v[12:15], off offset:48
	scratch_store_b128 off, v[16:19], off offset:64
	scratch_store_b128 off, v[20:23], off offset:80
	scratch_store_b128 off, v[24:27], off offset:96
	scratch_store_b128 off, v[28:31], off offset:112
	v_dual_mov_b32 v162, v130 :: v_dual_mov_b32 v163, v131
	v_dual_mov_b32 v184, v130 :: v_dual_mov_b32 v185, v131
	v_dual_mov_b32 v186, v132 :: v_dual_mov_b32 v187, v133
	v_dual_mov_b32 v188, v134 :: v_dual_mov_b32 v189, v135
	v_dual_mov_b32 v190, v136 :: v_dual_mov_b32 v191, v137
	v_dual_mov_b32 v192, v138 :: v_dual_mov_b32 v193, v139
	v_dual_mov_b32 v164, v132 :: v_dual_mov_b32 v165, v133
	v_dual_mov_b32 v166, v134 :: v_dual_mov_b32 v167, v135
	v_dual_mov_b32 v168, v136 :: v_dual_mov_b32 v169, v137
	v_dual_mov_b32 v170, v138 :: v_dual_mov_b32 v171, v139
	v_dual_mov_b32 v172, v140 :: v_dual_mov_b32 v173, v141
	v_dual_mov_b32 v174, v142 :: v_dual_mov_b32 v175, v143
	v_dual_mov_b32 v0, v162 :: v_dual_mov_b32 v1, v163
	v_dual_mov_b32 v22, v184 :: v_dual_mov_b32 v23, v185
	v_dual_mov_b32 v24, v186 :: v_dual_mov_b32 v25, v187
	v_dual_mov_b32 v26, v188 :: v_dual_mov_b32 v27, v189
	v_dual_mov_b32 v28, v190 :: v_dual_mov_b32 v29, v191
	v_dual_mov_b32 v30, v192 :: v_dual_mov_b32 v31, v193
	v_dual_mov_b32 v22, v130 :: v_dual_mov_b32 v23, v131
	v_dual_mov_b32 v194, v140 :: v_dual_mov_b32 v195, v141
	v_dual_mov_b32 v196, v142 :: v_dual_mov_b32 v197, v143
	v_dual_mov_b32 v2, v164 :: v_dual_mov_b32 v3, v165
	v_dual_mov_b32 v4, v166 :: v_dual_mov_b32 v5, v167
	v_dual_mov_b32 v6, v168 :: v_dual_mov_b32 v7, v169
	v_dual_mov_b32 v8, v170 :: v_dual_mov_b32 v9, v171
	v_dual_mov_b32 v10, v172 :: v_dual_mov_b32 v11, v173
	v_dual_mov_b32 v12, v174 :: v_dual_mov_b32 v13, v175
	v_dual_mov_b32 v14, v176 :: v_dual_mov_b32 v15, v177
	v_dual_mov_b32 v16, v178 :: v_dual_mov_b32 v17, v179
	v_dual_mov_b32 v18, v180 :: v_dual_mov_b32 v19, v181
	v_dual_mov_b32 v20, v182 :: v_dual_mov_b32 v21, v183
	v_dual_mov_b32 v24, v132 :: v_dual_mov_b32 v25, v133
	v_dual_mov_b32 v26, v134 :: v_dual_mov_b32 v27, v135
	v_dual_mov_b32 v28, v136 :: v_dual_mov_b32 v29, v137
	v_dual_mov_b32 v30, v138 :: v_dual_mov_b32 v31, v139
	v_dual_mov_b32 v32, v140 :: v_dual_mov_b32 v33, v141
	v_dual_mov_b32 v34, v142 :: v_dual_mov_b32 v35, v143
	s_clause 0x7
	scratch_store_b128 off, v[22:25], off offset:128
	scratch_store_b128 off, v[26:29], off offset:144
	;; [unrolled: 1-line block ×8, first 2 shown]
.LBB18_78:
	s_or_b32 exec_lo, exec_lo, s4
	v_dual_mov_b32 v163, v93 :: v_dual_mov_b32 v162, v92
	v_dual_mov_b32 v233, v181 :: v_dual_mov_b32 v232, v180
	s_mov_b32 s4, exec_lo
	v_cmpx_lt_f64_e32 v[92:93], v[238:239]
	s_cbranch_execz .LBB18_80
; %bb.79:
	s_clause 0x7
	scratch_load_b128 v[0:3], off, off
	scratch_load_b128 v[4:7], off, off offset:16
	scratch_load_b128 v[8:11], off, off offset:32
	;; [unrolled: 1-line block ×7, first 2 shown]
	s_waitcnt vmcnt(3)
	v_dual_mov_b32 v18, v92 :: v_dual_mov_b32 v19, v93
	s_waitcnt vmcnt(2)
	v_dual_mov_b32 v20, v238 :: v_dual_mov_b32 v21, v239
	v_dual_mov_b32 v202, v234 :: v_dual_mov_b32 v203, v235
	;; [unrolled: 1-line block ×7, first 2 shown]
	s_waitcnt vmcnt(0)
	s_clause 0x7
	scratch_store_b128 off, v[0:3], off
	scratch_store_b128 off, v[4:7], off offset:16
	scratch_store_b128 off, v[8:11], off offset:32
	scratch_store_b128 off, v[12:15], off offset:48
	scratch_store_b128 off, v[16:19], off offset:64
	scratch_store_b128 off, v[20:23], off offset:80
	scratch_store_b128 off, v[24:27], off offset:96
	scratch_store_b128 off, v[28:31], off offset:112
	v_dual_mov_b32 v0, v184 :: v_dual_mov_b32 v1, v185
	v_dual_mov_b32 v2, v186 :: v_dual_mov_b32 v3, v187
	;; [unrolled: 1-line block ×16, first 2 shown]
.LBB18_80:
	s_or_b32 exec_lo, exec_lo, s4
	s_clause 0xf
	scratch_load_b128 v[50:53], off, off offset:256
	scratch_load_b128 v[54:57], off, off offset:272
	scratch_load_b128 v[58:61], off, off offset:288
	scratch_load_b128 v[62:65], off, off offset:304
	scratch_load_b128 v[66:69], off, off offset:320
	scratch_load_b128 v[70:73], off, off offset:336
	scratch_load_b128 v[74:77], off, off offset:352
	scratch_load_b128 v[78:81], off, off offset:368
	scratch_load_b128 v[164:167], off, off offset:1664
	scratch_load_b128 v[168:171], off, off offset:1680
	scratch_load_b128 v[172:175], off, off offset:1696
	scratch_load_b128 v[176:179], off, off offset:1712
	scratch_load_b128 v[180:183], off, off offset:1728
	scratch_load_b128 v[184:187], off, off offset:1744
	scratch_load_b128 v[188:191], off, off offset:1760
	scratch_load_b128 v[192:195], off, off offset:1776
	s_mov_b32 s4, exec_lo
	s_waitcnt vmcnt(7)
	v_dual_mov_b32 v48, v166 :: v_dual_mov_b32 v49, v167
	v_dual_mov_b32 v164, v166 :: v_dual_mov_b32 v165, v167
	s_delay_alu instid0(VALU_DEP_2)
	v_cmpx_lt_f64_e32 v[52:53], v[48:49]
	s_cbranch_execz .LBB18_82
; %bb.81:
	s_clause 0x7
	scratch_load_b128 v[0:3], off, off
	scratch_load_b128 v[4:7], off, off offset:16
	scratch_load_b128 v[8:11], off, off offset:32
	;; [unrolled: 1-line block ×7, first 2 shown]
	v_dual_mov_b32 v68, v88 :: v_dual_mov_b32 v71, v91
	v_dual_mov_b32 v70, v90 :: v_dual_mov_b32 v73, v221
	;; [unrolled: 1-line block ×7, first 2 shown]
	v_mov_b32_e32 v78, v42
	v_dual_mov_b32 v98, v88 :: v_dual_mov_b32 v99, v89
	v_dual_mov_b32 v92, v220 :: v_dual_mov_b32 v93, v221
	;; [unrolled: 1-line block ×8, first 2 shown]
	v_mov_b32_e32 v69, v89
	v_mov_b32_e32 v79, v43
	s_waitcnt vmcnt(3)
	v_dual_mov_b32 v65, v19 :: v_dual_mov_b32 v64, v18
	v_dual_mov_b32 v63, v17 :: v_dual_mov_b32 v62, v16
	;; [unrolled: 1-line block ×8, first 2 shown]
	s_waitcnt vmcnt(2)
	v_dual_mov_b32 v67, v21 :: v_dual_mov_b32 v66, v20
	s_clause 0x7
	scratch_load_b128 v[0:3], off, off offset:256
	scratch_load_b128 v[4:7], off, off offset:272
	;; [unrolled: 1-line block ×8, first 2 shown]
	s_waitcnt vmcnt(7)
	v_dual_mov_b32 v46, v2 :: v_dual_mov_b32 v47, v3
	v_dual_mov_b32 v165, v3 :: v_dual_mov_b32 v164, v2
	s_clause 0xf
	scratch_load_b128 v[0:3], off, off offset:1536
	scratch_load_b128 v[4:7], off, off offset:1552
	scratch_load_b128 v[8:11], off, off offset:1568
	scratch_load_b128 v[12:15], off, off offset:1584
	scratch_load_b128 v[16:19], off, off offset:1600
	scratch_load_b128 v[20:23], off, off offset:1616
	scratch_load_b128 v[24:27], off, off offset:1632
	scratch_load_b128 v[28:31], off, off offset:1648
	scratch_load_b128 v[166:169], off, off offset:384
	scratch_load_b128 v[170:173], off, off offset:400
	scratch_load_b128 v[174:177], off, off offset:416
	scratch_load_b128 v[178:181], off, off offset:432
	scratch_load_b128 v[182:185], off, off offset:448
	scratch_load_b128 v[186:189], off, off offset:464
	scratch_load_b128 v[190:193], off, off offset:480
	scratch_load_b128 v[194:197], off, off offset:496
	s_waitcnt vmcnt(5)
	v_mov_b32_e32 v176, v42
	v_dual_mov_b32 v16, v230 :: v_dual_mov_b32 v21, v235
	v_dual_mov_b32 v17, v231 :: v_dual_mov_b32 v18, v232
	v_mov_b32_e32 v1, v89
	v_dual_mov_b32 v19, v233 :: v_dual_mov_b32 v20, v234
	v_dual_mov_b32 v3, v91 :: v_dual_mov_b32 v4, v220
	;; [unrolled: 1-line block ×12, first 2 shown]
	v_mov_b32_e32 v74, v126
	s_waitcnt vmcnt(4)
	v_mov_b32_e32 v80, v178
	v_dual_mov_b32 v12, v178 :: v_dual_mov_b32 v81, v179
	v_dual_mov_b32 v76, v106 :: v_dual_mov_b32 v77, v107
	s_clause 0xf
	scratch_store_b128 off, v[46:49], off
	scratch_store_b128 off, v[50:53], off offset:16
	scratch_store_b128 off, v[54:57], off offset:32
	;; [unrolled: 1-line block ×15, first 2 shown]
	v_dual_mov_b32 v40, v106 :: v_dual_mov_b32 v41, v107
	v_dual_mov_b32 v13, v179 :: v_dual_mov_b32 v22, v178
	;; [unrolled: 1-line block ×3, first 2 shown]
	v_mov_b32_e32 v175, v107
	s_clause 0x7
	scratch_store_b128 off, v[10:13], off offset:384
	scratch_store_b128 off, v[14:17], off offset:400
	;; [unrolled: 1-line block ×8, first 2 shown]
	s_waitcnt vmcnt(0)
	s_clause 0xf
	scratch_store_b128 off, v[166:169], off offset:128
	scratch_store_b128 off, v[170:173], off offset:144
	;; [unrolled: 1-line block ×16, first 2 shown]
	v_dual_mov_b32 v23, v9 :: v_dual_mov_b32 v22, v8
	v_dual_mov_b32 v161, v99 :: v_dual_mov_b32 v160, v98
	v_dual_mov_b32 v151, v89 :: v_dual_mov_b32 v150, v88
	v_dual_mov_b32 v149, v87 :: v_dual_mov_b32 v148, v86
	v_dual_mov_b32 v147, v85 :: v_dual_mov_b32 v146, v84
	v_dual_mov_b32 v145, v83 :: v_dual_mov_b32 v144, v82
	v_dual_mov_b32 v143, v81 :: v_dual_mov_b32 v142, v80
	v_dual_mov_b32 v141, v79 :: v_dual_mov_b32 v140, v78
	v_dual_mov_b32 v139, v77 :: v_dual_mov_b32 v138, v76
	v_dual_mov_b32 v137, v75 :: v_dual_mov_b32 v136, v74
	v_dual_mov_b32 v135, v73 :: v_dual_mov_b32 v134, v72
	v_dual_mov_b32 v133, v71 :: v_dual_mov_b32 v132, v70
	v_dual_mov_b32 v131, v69 :: v_dual_mov_b32 v130, v68
	v_dual_mov_b32 v159, v97 :: v_dual_mov_b32 v158, v96
	v_dual_mov_b32 v157, v95 :: v_dual_mov_b32 v156, v94
	v_dual_mov_b32 v155, v93 :: v_dual_mov_b32 v154, v92
	v_dual_mov_b32 v153, v91 :: v_dual_mov_b32 v152, v90
	s_clause 0x1f
	scratch_store_b128 off, v[14:17], off offset:1536
	scratch_store_b128 off, v[18:21], off offset:1552
	scratch_store_b128 off, v[22:25], off offset:1568
	scratch_store_b128 off, v[26:29], off offset:1584
	scratch_store_b128 off, v[30:33], off offset:1600
	scratch_store_b128 off, v[34:37], off offset:1616
	scratch_store_b128 off, v[38:41], off offset:1632
	scratch_store_b128 off, v[42:45], off offset:1648
	scratch_store_b128 off, v[98:101], off offset:640
	scratch_store_b128 off, v[102:105], off offset:656
	scratch_store_b128 off, v[106:109], off offset:672
	scratch_store_b128 off, v[110:113], off offset:688
	scratch_store_b128 off, v[114:117], off offset:704
	scratch_store_b128 off, v[118:121], off offset:720
	scratch_store_b128 off, v[122:125], off offset:736
	scratch_store_b128 off, v[126:129], off offset:752
	scratch_store_b128 off, v[120:123], off offset:768
	scratch_store_b128 off, v[124:127], off offset:784
	scratch_store_b128 off, v[128:131], off offset:800
	scratch_store_b128 off, v[132:135], off offset:816
	scratch_store_b128 off, v[136:139], off offset:832
	scratch_store_b128 off, v[140:143], off offset:848
	scratch_store_b128 off, v[144:147], off offset:864
	scratch_store_b128 off, v[148:151], off offset:880
	scratch_store_b128 off, v[88:91], off offset:896
	scratch_store_b128 off, v[92:95], off offset:912
	scratch_store_b128 off, v[96:99], off offset:928
	scratch_store_b128 off, v[100:103], off offset:944
	scratch_store_b128 off, v[104:107], off offset:960
	scratch_store_b128 off, v[108:111], off offset:976
	scratch_store_b128 off, v[112:115], off offset:992
	scratch_store_b128 off, v[116:119], off offset:1008
	s_clause 0xf
	scratch_store_b128 off, v[88:91], off offset:1152
	scratch_store_b128 off, v[92:95], off offset:1168
	;; [unrolled: 1-line block ×16, first 2 shown]
	v_dual_mov_b32 v88, v90 :: v_dual_mov_b32 v89, v91
.LBB18_82:
	s_or_b32 exec_lo, exec_lo, s4
	s_clause 0x7
	scratch_load_b128 v[48:51], off, off offset:1024
	scratch_load_b128 v[52:55], off, off offset:1040
	;; [unrolled: 1-line block ×8, first 2 shown]
	v_dual_mov_b32 v46, v94 :: v_dual_mov_b32 v47, v95
	s_waitcnt vmcnt(7)
	v_dual_mov_b32 v50, v220 :: v_dual_mov_b32 v51, v221
	s_mov_b32 s4, exec_lo
	s_waitcnt vmcnt(0)
	s_clause 0x7
	scratch_store_b128 off, v[48:51], off offset:1024
	scratch_store_b128 off, v[52:55], off offset:1040
	;; [unrolled: 1-line block ×8, first 2 shown]
	v_cmpx_lt_f64_e32 v[94:95], v[241:242]
	s_cbranch_execz .LBB18_84
; %bb.83:
	s_clause 0x7
	scratch_load_b128 v[0:3], off, off
	scratch_load_b128 v[4:7], off, off offset:16
	scratch_load_b128 v[8:11], off, off offset:32
	;; [unrolled: 1-line block ×7, first 2 shown]
	s_waitcnt vmcnt(6)
	v_dual_mov_b32 v4, v94 :: v_dual_mov_b32 v5, v95
	v_dual_mov_b32 v6, v241 :: v_dual_mov_b32 v7, v242
	;; [unrolled: 1-line block ×11, first 2 shown]
	s_waitcnt vmcnt(0)
	s_clause 0x7
	scratch_store_b128 off, v[0:3], off
	scratch_store_b128 off, v[4:7], off offset:16
	scratch_store_b128 off, v[8:11], off offset:32
	;; [unrolled: 1-line block ×7, first 2 shown]
	s_clause 0x7
	scratch_load_b128 v[8:11], off, off offset:1152
	scratch_load_b128 v[12:15], off, off offset:1168
	;; [unrolled: 1-line block ×8, first 2 shown]
	s_waitcnt vmcnt(6)
	v_dual_mov_b32 v12, v126 :: v_dual_mov_b32 v13, v127
	v_dual_mov_b32 v4, v126 :: v_dual_mov_b32 v5, v127
	;; [unrolled: 1-line block ×3, first 2 shown]
	s_waitcnt vmcnt(0)
	v_dual_mov_b32 v36, v126 :: v_dual_mov_b32 v37, v127
	v_dual_mov_b32 v38, v220 :: v_dual_mov_b32 v39, v221
	;; [unrolled: 1-line block ×4, first 2 shown]
	s_clause 0x7
	scratch_store_b128 off, v[0:3], off offset:768
	scratch_store_b128 off, v[4:7], off offset:784
	;; [unrolled: 1-line block ×8, first 2 shown]
	s_clause 0xf
	scratch_load_b128 v[48:51], off, off offset:1536
	scratch_load_b128 v[52:55], off, off offset:1552
	;; [unrolled: 1-line block ×16, first 2 shown]
	s_waitcnt vmcnt(14)
	v_dual_mov_b32 v52, v126 :: v_dual_mov_b32 v53, v127
	s_waitcnt vmcnt(6)
	v_dual_mov_b32 v170, v126 :: v_dual_mov_b32 v171, v127
	v_dual_mov_b32 v72, v126 :: v_dual_mov_b32 v73, v127
	;; [unrolled: 1-line block ×4, first 2 shown]
	s_waitcnt vmcnt(5)
	v_dual_mov_b32 v176, v42 :: v_dual_mov_b32 v177, v43
	v_dual_mov_b32 v78, v42 :: v_dual_mov_b32 v79, v43
	;; [unrolled: 1-line block ×13, first 2 shown]
	s_clause 0x7
	scratch_store_b128 off, v[8:11], off offset:896
	scratch_store_b128 off, v[12:15], off offset:912
	;; [unrolled: 1-line block ×8, first 2 shown]
	s_clause 0x7
	scratch_load_b128 v[0:3], off, off offset:1024
	scratch_load_b128 v[4:7], off, off offset:1040
	scratch_load_b128 v[8:11], off, off offset:1056
	scratch_load_b128 v[12:15], off, off offset:1072
	scratch_load_b128 v[16:19], off, off offset:1088
	scratch_load_b128 v[20:23], off, off offset:1104
	scratch_load_b128 v[24:27], off, off offset:1120
	scratch_load_b128 v[28:31], off, off offset:1136
	s_waitcnt vmcnt(7)
	v_dual_mov_b32 v2, v126 :: v_dual_mov_b32 v3, v127
	v_dual_mov_b32 v110, v178 :: v_dual_mov_b32 v111, v179
	;; [unrolled: 1-line block ×10, first 2 shown]
	s_delay_alu instid0(VALU_DEP_3)
	v_dual_mov_b32 v143, v81 :: v_dual_mov_b32 v142, v80
	v_dual_mov_b32 v141, v79 :: v_dual_mov_b32 v140, v78
	;; [unrolled: 1-line block ×14, first 2 shown]
	s_waitcnt vmcnt(0)
	s_clause 0x7
	scratch_store_b128 off, v[0:3], off offset:1024
	scratch_store_b128 off, v[4:7], off offset:1040
	;; [unrolled: 1-line block ×8, first 2 shown]
	v_dual_mov_b32 v0, v98 :: v_dual_mov_b32 v1, v99
	v_dual_mov_b32 v22, v120 :: v_dual_mov_b32 v23, v121
	;; [unrolled: 1-line block ×13, first 2 shown]
	s_clause 0x17
	scratch_store_b128 off, v[10:13], off offset:384
	scratch_store_b128 off, v[14:17], off offset:400
	;; [unrolled: 1-line block ×24, first 2 shown]
	v_dual_mov_b32 v2, v100 :: v_dual_mov_b32 v3, v101
	v_dual_mov_b32 v4, v102 :: v_dual_mov_b32 v5, v103
	;; [unrolled: 1-line block ×5, first 2 shown]
	s_clause 0xf
	scratch_store_b128 off, v[14:17], off offset:1536
	scratch_store_b128 off, v[18:21], off offset:1552
	;; [unrolled: 1-line block ×16, first 2 shown]
.LBB18_84:
	s_or_b32 exec_lo, exec_lo, s4
	s_clause 0x7
	scratch_load_b128 v[50:53], off, off offset:1536
	scratch_load_b128 v[54:57], off, off offset:1552
	;; [unrolled: 1-line block ×8, first 2 shown]
	v_dual_mov_b32 v48, v96 :: v_dual_mov_b32 v49, v97
	s_mov_b32 s4, exec_lo
	s_waitcnt vmcnt(5)
	v_dual_mov_b32 v32, v58 :: v_dual_mov_b32 v33, v59
	v_dual_mov_b32 v129, v59 :: v_dual_mov_b32 v128, v58
	v_cmpx_lt_f64_e32 v[96:97], v[218:219]
	s_cbranch_execz .LBB18_86
; %bb.85:
	s_clause 0x7
	scratch_load_b128 v[0:3], off, off
	scratch_load_b128 v[4:7], off, off offset:16
	scratch_load_b128 v[8:11], off, off offset:32
	;; [unrolled: 1-line block ×7, first 2 shown]
	s_waitcnt vmcnt(5)
	v_dual_mov_b32 v8, v96 :: v_dual_mov_b32 v9, v97
	v_dual_mov_b32 v10, v218 :: v_dual_mov_b32 v11, v219
	;; [unrolled: 1-line block ×5, first 2 shown]
	s_waitcnt vmcnt(0)
	s_clause 0x7
	scratch_store_b128 off, v[0:3], off
	scratch_store_b128 off, v[4:7], off offset:16
	scratch_store_b128 off, v[8:11], off offset:32
	;; [unrolled: 1-line block ×7, first 2 shown]
	s_clause 0x7
	scratch_load_b128 v[0:3], off, off offset:768
	scratch_load_b128 v[4:7], off, off offset:784
	;; [unrolled: 1-line block ×8, first 2 shown]
	s_waitcnt vmcnt(3)
	v_dual_mov_b32 v18, v42 :: v_dual_mov_b32 v19, v43
	s_waitcnt vmcnt(2)
	v_dual_mov_b32 v20, v32 :: v_dual_mov_b32 v21, v33
	v_dual_mov_b32 v8, v42 :: v_dual_mov_b32 v9, v43
	;; [unrolled: 1-line block ×6, first 2 shown]
	s_waitcnt vmcnt(0)
	s_clause 0x7
	scratch_store_b128 off, v[10:13], off offset:512
	scratch_store_b128 off, v[14:17], off offset:528
	;; [unrolled: 1-line block ×8, first 2 shown]
	s_clause 0x7
	scratch_load_b128 v[50:53], off, off offset:384
	scratch_load_b128 v[54:57], off, off offset:400
	;; [unrolled: 1-line block ×8, first 2 shown]
	v_dual_mov_b32 v26, v230 :: v_dual_mov_b32 v27, v231
	v_dual_mov_b32 v28, v232 :: v_dual_mov_b32 v29, v233
	v_dual_mov_b32 v30, v234 :: v_dual_mov_b32 v31, v235
	v_dual_mov_b32 v24, v82 :: v_dual_mov_b32 v25, v83
	s_waitcnt vmcnt(7)
	v_dual_mov_b32 v50, v0 :: v_dual_mov_b32 v51, v1
	v_dual_mov_b32 v52, v2 :: v_dual_mov_b32 v53, v3
	s_waitcnt vmcnt(6)
	v_dual_mov_b32 v54, v4 :: v_dual_mov_b32 v55, v5
	v_dual_mov_b32 v56, v6 :: v_dual_mov_b32 v57, v7
	s_waitcnt vmcnt(3)
	v_dual_mov_b32 v68, v0 :: v_dual_mov_b32 v69, v1
	s_waitcnt vmcnt(2)
	v_dual_mov_b32 v70, v2 :: v_dual_mov_b32 v71, v3
	v_dual_mov_b32 v72, v4 :: v_dual_mov_b32 v73, v5
	s_waitcnt vmcnt(1)
	v_dual_mov_b32 v74, v6 :: v_dual_mov_b32 v75, v7
	v_dual_mov_b32 v76, v42 :: v_dual_mov_b32 v77, v43
	;; [unrolled: 1-line block ×3, first 2 shown]
	s_waitcnt vmcnt(0)
	v_dual_mov_b32 v78, v32 :: v_dual_mov_b32 v79, v33
	v_dual_mov_b32 v43, v33 :: v_dual_mov_b32 v42, v32
	v_dual_mov_b32 v60, v32 :: v_dual_mov_b32 v61, v33
	v_dual_mov_b32 v22, v62 :: v_dual_mov_b32 v23, v63
	s_clause 0x7
	scratch_store_b128 off, v[0:3], off offset:640
	scratch_store_b128 off, v[4:7], off offset:656
	;; [unrolled: 1-line block ×8, first 2 shown]
	v_dual_mov_b32 v80, v62 :: v_dual_mov_b32 v81, v63
	v_dual_mov_b32 v161, v99 :: v_dual_mov_b32 v160, v98
	;; [unrolled: 1-line block ×17, first 2 shown]
	v_mov_b32_e32 v0, v10
	v_dual_mov_b32 v1, v11 :: v_dual_mov_b32 v2, v12
	v_dual_mov_b32 v3, v13 :: v_dual_mov_b32 v4, v14
	;; [unrolled: 1-line block ×5, first 2 shown]
	v_mov_b32_e32 v11, v21
	v_mov_b32_e32 v12, v22
	;; [unrolled: 1-line block ×20, first 2 shown]
	v_dual_mov_b32 v31, v41 :: v_dual_mov_b32 v22, v62
	v_mov_b32_e32 v23, v63
	s_clause 0xf
	scratch_store_b128 off, v[10:13], off offset:384
	scratch_store_b128 off, v[14:17], off offset:400
	scratch_store_b128 off, v[18:21], off offset:416
	scratch_store_b128 off, v[22:25], off offset:432
	scratch_store_b128 off, v[26:29], off offset:448
	scratch_store_b128 off, v[30:33], off offset:464
	scratch_store_b128 off, v[34:37], off offset:480
	scratch_store_b128 off, v[38:41], off offset:496
	scratch_store_b128 off, v[50:53], off offset:128
	scratch_store_b128 off, v[54:57], off offset:144
	scratch_store_b128 off, v[58:61], off offset:160
	scratch_store_b128 off, v[62:65], off offset:176
	scratch_store_b128 off, v[66:69], off offset:192
	scratch_store_b128 off, v[70:73], off offset:208
	scratch_store_b128 off, v[74:77], off offset:224
	scratch_store_b128 off, v[78:81], off offset:240
.LBB18_86:
	s_or_b32 exec_lo, exec_lo, s4
	s_clause 0x7
	scratch_load_b128 v[90:93], off, off offset:384
	scratch_load_b128 v[94:97], off, off offset:400
	scratch_load_b128 v[98:101], off, off offset:416
	scratch_load_b128 v[102:105], off, off offset:432
	scratch_load_b128 v[106:109], off, off offset:448
	scratch_load_b128 v[110:113], off, off offset:464
	scratch_load_b128 v[114:117], off, off offset:480
	scratch_load_b128 v[118:121], off, off offset:496
	v_dual_mov_b32 v50, v243 :: v_dual_mov_b32 v51, v244
	s_mov_b32 s4, exec_lo
	s_waitcnt vmcnt(4)
	v_dual_mov_b32 v237, v103 :: v_dual_mov_b32 v236, v102
	v_dual_mov_b32 v44, v102 :: v_dual_mov_b32 v45, v103
	v_cmpx_lt_f64_e32 v[243:244], v[228:229]
	s_cbranch_execz .LBB18_88
; %bb.87:
	s_clause 0x7
	scratch_load_b128 v[0:3], off, off
	scratch_load_b128 v[4:7], off, off offset:16
	scratch_load_b128 v[8:11], off, off offset:32
	;; [unrolled: 1-line block ×7, first 2 shown]
	s_waitcnt vmcnt(4)
	v_dual_mov_b32 v12, v243 :: v_dual_mov_b32 v13, v244
	v_dual_mov_b32 v14, v228 :: v_dual_mov_b32 v15, v229
	;; [unrolled: 1-line block ×7, first 2 shown]
	s_waitcnt vmcnt(0)
	s_clause 0x7
	scratch_store_b128 off, v[0:3], off
	scratch_store_b128 off, v[4:7], off offset:16
	scratch_store_b128 off, v[8:11], off offset:32
	scratch_store_b128 off, v[12:15], off offset:48
	scratch_store_b128 off, v[16:19], off offset:64
	scratch_store_b128 off, v[20:23], off offset:80
	scratch_store_b128 off, v[24:27], off offset:96
	scratch_store_b128 off, v[28:31], off offset:112
	s_clause 0x7
	scratch_load_b128 v[0:3], off, off offset:512
	scratch_load_b128 v[4:7], off, off offset:528
	scratch_load_b128 v[8:11], off, off offset:544
	scratch_load_b128 v[12:15], off, off offset:560
	scratch_load_b128 v[16:19], off, off offset:576
	scratch_load_b128 v[20:23], off, off offset:592
	scratch_load_b128 v[24:27], off, off offset:608
	scratch_load_b128 v[28:31], off, off offset:624
	s_waitcnt vmcnt(4)
	v_dual_mov_b32 v12, v82 :: v_dual_mov_b32 v13, v83
	s_waitcnt vmcnt(0)
	v_dual_mov_b32 v30, v230 :: v_dual_mov_b32 v31, v231
	v_dual_mov_b32 v26, v82 :: v_dual_mov_b32 v27, v83
	;; [unrolled: 1-line block ×18, first 2 shown]
	s_clause 0x7
	scratch_store_b128 off, v[0:3], off offset:128
	scratch_store_b128 off, v[4:7], off offset:144
	;; [unrolled: 1-line block ×8, first 2 shown]
	v_mov_b32_e32 v0, v14
	v_dual_mov_b32 v1, v15 :: v_dual_mov_b32 v2, v16
	v_dual_mov_b32 v3, v17 :: v_dual_mov_b32 v4, v18
	v_dual_mov_b32 v5, v19 :: v_dual_mov_b32 v6, v20
	v_dual_mov_b32 v7, v21 :: v_dual_mov_b32 v8, v22
	v_dual_mov_b32 v9, v23 :: v_dual_mov_b32 v10, v24
	v_dual_mov_b32 v11, v25 :: v_dual_mov_b32 v12, v26
	v_dual_mov_b32 v13, v27 :: v_dual_mov_b32 v14, v28
	v_mov_b32_e32 v15, v29
	v_mov_b32_e32 v16, v30
	;; [unrolled: 1-line block ×17, first 2 shown]
.LBB18_88:
	s_or_b32 exec_lo, exec_lo, s4
	v_dual_mov_b32 v52, v238 :: v_dual_mov_b32 v53, v239
	v_dual_mov_b32 v84, v230 :: v_dual_mov_b32 v85, v231
	s_mov_b32 s4, exec_lo
	v_cmpx_lt_f64_e32 v[238:239], v[216:217]
	s_cbranch_execz .LBB18_90
; %bb.89:
	s_clause 0x7
	scratch_load_b128 v[0:3], off, off
	scratch_load_b128 v[4:7], off, off offset:16
	scratch_load_b128 v[8:11], off, off offset:32
	;; [unrolled: 1-line block ×7, first 2 shown]
	v_dual_mov_b32 v32, v230 :: v_dual_mov_b32 v33, v231
	v_dual_mov_b32 v34, v232 :: v_dual_mov_b32 v35, v233
	;; [unrolled: 1-line block ×3, first 2 shown]
	s_waitcnt vmcnt(3)
	v_dual_mov_b32 v16, v238 :: v_dual_mov_b32 v17, v239
	v_dual_mov_b32 v18, v216 :: v_dual_mov_b32 v19, v217
	v_dual_mov_b32 v146, v34 :: v_dual_mov_b32 v147, v35
	v_dual_mov_b32 v148, v32 :: v_dual_mov_b32 v149, v33
	v_dual_mov_b32 v150, v36 :: v_dual_mov_b32 v151, v37
	v_dual_mov_b32 v85, v35 :: v_dual_mov_b32 v84, v34
	v_dual_mov_b32 v35, v33 :: v_dual_mov_b32 v34, v32
	v_dual_mov_b32 v235, v37 :: v_dual_mov_b32 v234, v36
	v_dual_mov_b32 v52, v216 :: v_dual_mov_b32 v53, v217
	v_dual_mov_b32 v216, v238 :: v_dual_mov_b32 v217, v239
	s_delay_alu instid0(VALU_DEP_4)
	v_dual_mov_b32 v233, v35 :: v_dual_mov_b32 v232, v34
	s_waitcnt vmcnt(0)
	s_clause 0x7
	scratch_store_b128 off, v[0:3], off
	scratch_store_b128 off, v[4:7], off offset:16
	scratch_store_b128 off, v[8:11], off offset:32
	;; [unrolled: 1-line block ×7, first 2 shown]
	v_dual_mov_b32 v0, v130 :: v_dual_mov_b32 v1, v131
	v_dual_mov_b32 v2, v132 :: v_dual_mov_b32 v3, v133
	;; [unrolled: 1-line block ×16, first 2 shown]
.LBB18_90:
	s_or_b32 exec_lo, exec_lo, s4
	s_clause 0x7
	scratch_load_b128 v[90:93], off, off offset:256
	scratch_load_b128 v[94:97], off, off offset:272
	;; [unrolled: 1-line block ×8, first 2 shown]
	v_dual_mov_b32 v54, v241 :: v_dual_mov_b32 v55, v242
	s_mov_b32 s4, exec_lo
	s_waitcnt vmcnt(7)
	v_cmpx_lt_f64_e32 v[241:242], v[92:93]
	s_cbranch_execz .LBB18_92
; %bb.91:
	s_clause 0x7
	scratch_load_b128 v[0:3], off, off offset:1024
	scratch_load_b128 v[4:7], off, off offset:1040
	;; [unrolled: 1-line block ×8, first 2 shown]
	v_dual_mov_b32 v60, v88 :: v_dual_mov_b32 v61, v89
	v_dual_mov_b32 v124, v88 :: v_dual_mov_b32 v125, v89
	;; [unrolled: 1-line block ×6, first 2 shown]
	v_mov_b32_e32 v78, v42
	v_dual_mov_b32 v80, v44 :: v_dual_mov_b32 v77, v129
	v_mov_b32_e32 v39, v127
	v_mov_b32_e32 v75, v127
	;; [unrolled: 1-line block ×3, first 2 shown]
	s_waitcnt vmcnt(7)
	v_dual_mov_b32 v59, v3 :: v_dual_mov_b32 v58, v2
	v_dual_mov_b32 v57, v1 :: v_dual_mov_b32 v56, v0
	s_clause 0xf
	scratch_load_b128 v[0:3], off, off
	scratch_load_b128 v[4:7], off, off offset:16
	scratch_load_b128 v[8:11], off, off offset:32
	;; [unrolled: 1-line block ×15, first 2 shown]
	v_mov_b32_e32 v38, v126
	v_dual_mov_b32 v40, v128 :: v_dual_mov_b32 v71, v59
	v_dual_mov_b32 v68, v56 :: v_dual_mov_b32 v69, v57
	v_mov_b32_e32 v70, v58
	v_dual_mov_b32 v120, v56 :: v_dual_mov_b32 v121, v57
	v_dual_mov_b32 v122, v58 :: v_dual_mov_b32 v33, v57
	;; [unrolled: 1-line block ×4, first 2 shown]
	s_waitcnt vmcnt(7)
	v_dual_mov_b32 v2, v88 :: v_dual_mov_b32 v3, v89
	v_dual_mov_b32 v54, v88 :: v_dual_mov_b32 v55, v89
	v_mov_b32_e32 v86, v232
	s_delay_alu instid0(VALU_DEP_3)
	v_dual_mov_b32 v4, v2 :: v_dual_mov_b32 v5, v3
	v_dual_mov_b32 v2, v241 :: v_dual_mov_b32 v3, v242
	v_mov_b32_e32 v87, v233
	s_clause 0x7
	scratch_store_b128 off, v[0:3], off
	scratch_store_b128 off, v[4:7], off offset:16
	scratch_store_b128 off, v[8:11], off offset:32
	;; [unrolled: 1-line block ×7, first 2 shown]
	v_dual_mov_b32 v88, v234 :: v_dual_mov_b32 v89, v235
	s_clause 0x7
	scratch_store_b128 off, v[56:59], off offset:896
	scratch_store_b128 off, v[60:63], off offset:912
	;; [unrolled: 1-line block ×8, first 2 shown]
	v_dual_mov_b32 v2, v241 :: v_dual_mov_b32 v3, v242
	s_clause 0x17
	scratch_store_b128 off, v[0:3], off offset:256
	scratch_store_b128 off, v[4:7], off offset:272
	;; [unrolled: 1-line block ×24, first 2 shown]
	s_waitcnt vmcnt(4)
	v_dual_mov_b32 v0, v68 :: v_dual_mov_b32 v1, v69
	v_dual_mov_b32 v2, v70 :: v_dual_mov_b32 v3, v71
	;; [unrolled: 1-line block ×16, first 2 shown]
.LBB18_92:
	s_or_b32 exec_lo, exec_lo, s4
	v_dual_mov_b32 v56, v218 :: v_dual_mov_b32 v57, v219
	s_mov_b32 s4, exec_lo
	v_cmpx_lt_f64_e32 v[218:219], v[46:47]
	s_cbranch_execz .LBB18_94
; %bb.93:
	s_clause 0x7
	scratch_load_b128 v[0:3], off, off
	scratch_load_b128 v[4:7], off, off offset:16
	scratch_load_b128 v[8:11], off, off offset:32
	;; [unrolled: 1-line block ×7, first 2 shown]
	s_waitcnt vmcnt(6)
	v_dual_mov_b32 v6, v218 :: v_dual_mov_b32 v7, v219
	s_waitcnt vmcnt(5)
	v_dual_mov_b32 v8, v46 :: v_dual_mov_b32 v9, v47
	v_dual_mov_b32 v86, v232 :: v_dual_mov_b32 v87, v233
	;; [unrolled: 1-line block ×11, first 2 shown]
	s_waitcnt vmcnt(0)
	s_clause 0x7
	scratch_store_b128 off, v[0:3], off
	scratch_store_b128 off, v[4:7], off offset:16
	scratch_store_b128 off, v[8:11], off offset:32
	;; [unrolled: 1-line block ×7, first 2 shown]
	s_clause 0x7
	scratch_load_b128 v[0:3], off, off offset:896
	scratch_load_b128 v[4:7], off, off offset:912
	;; [unrolled: 1-line block ×8, first 2 shown]
	s_waitcnt vmcnt(6)
	v_dual_mov_b32 v61, v5 :: v_dual_mov_b32 v60, v4
	v_dual_mov_b32 v57, v1 :: v_dual_mov_b32 v56, v0
	;; [unrolled: 1-line block ×3, first 2 shown]
	s_delay_alu instid0(VALU_DEP_3) | instskip(NEXT) | instid1(VALU_DEP_3)
	v_dual_mov_b32 v72, v60 :: v_dual_mov_b32 v73, v61
	v_dual_mov_b32 v68, v56 :: v_dual_mov_b32 v69, v57
	s_delay_alu instid0(VALU_DEP_3) | instskip(SKIP_2) | instid1(VALU_DEP_3)
	v_dual_mov_b32 v70, v58 :: v_dual_mov_b32 v71, v59
	v_dual_mov_b32 v32, v56 :: v_dual_mov_b32 v33, v57
	s_waitcnt vmcnt(0)
	v_dual_mov_b32 v0, v68 :: v_dual_mov_b32 v1, v69
	v_dual_mov_b32 v34, v58 :: v_dual_mov_b32 v35, v59
	;; [unrolled: 1-line block ×18, first 2 shown]
	s_clause 0x7
	scratch_store_b128 off, v[56:59], off offset:640
	scratch_store_b128 off, v[60:63], off offset:656
	;; [unrolled: 1-line block ×8, first 2 shown]
	v_dual_mov_b32 v57, v47 :: v_dual_mov_b32 v56, v46
	v_dual_mov_b32 v46, v218 :: v_dual_mov_b32 v47, v219
	s_clause 0x7
	scratch_store_b128 off, v[32:35], off offset:128
	scratch_store_b128 off, v[36:39], off offset:144
	;; [unrolled: 1-line block ×8, first 2 shown]
.LBB18_94:
	s_or_b32 exec_lo, exec_lo, s4
	v_add_co_u32 v34, s0, s0, v240
	s_delay_alu instid0(VALU_DEP_1) | instskip(SKIP_1) | instid1(VALU_DEP_1)
	v_add_co_ci_u32_e64 v35, null, s1, 0, s0
	v_add_co_u32 v32, s0, s2, v240
	v_add_co_ci_u32_e64 v33, null, s3, 0, s0
	v_dual_mov_b32 v36, v228 :: v_dual_mov_b32 v37, v229
	s_mov_b32 s0, exec_lo
	v_cmpx_lt_f64_e32 v[228:229], v[48:49]
	s_cbranch_execz .LBB18_96
; %bb.95:
	s_clause 0xf
	scratch_load_b128 v[0:3], off, off
	scratch_load_b128 v[4:7], off, off offset:16
	scratch_load_b128 v[8:11], off, off offset:32
	;; [unrolled: 1-line block ×15, first 2 shown]
	s_waitcnt vmcnt(13)
	v_mov_b32_e32 v10, v228
	v_dual_mov_b32 v86, v232 :: v_dual_mov_b32 v103, v43
	v_dual_mov_b32 v88, v234 :: v_dual_mov_b32 v11, v229
	s_waitcnt vmcnt(12)
	v_dual_mov_b32 v12, v48 :: v_dual_mov_b32 v13, v49
	v_dual_mov_b32 v78, v44 :: v_dual_mov_b32 v87, v233
	;; [unrolled: 1-line block ×5, first 2 shown]
	v_mov_b32_e32 v101, v45
	v_mov_b32_e32 v79, v45
	s_waitcnt vmcnt(5)
	v_dual_mov_b32 v81, v43 :: v_dual_mov_b32 v90, v120
	v_mov_b32_e32 v93, v123
	v_dual_mov_b32 v91, v121 :: v_dual_mov_b32 v92, v122
	v_dual_mov_b32 v95, v125 :: v_dual_mov_b32 v94, v124
	;; [unrolled: 1-line block ×4, first 2 shown]
	s_delay_alu instid0(VALU_DEP_3)
	v_dual_mov_b32 v68, v90 :: v_dual_mov_b32 v73, v95
	v_dual_mov_b32 v100, v44 :: v_dual_mov_b32 v69, v91
	;; [unrolled: 1-line block ×5, first 2 shown]
	v_mov_b32_e32 v74, v96
	v_mov_b32_e32 v76, v98
	s_clause 0x7
	scratch_store_b128 off, v[0:3], off
	scratch_store_b128 off, v[4:7], off offset:16
	scratch_store_b128 off, v[8:11], off offset:32
	;; [unrolled: 1-line block ×7, first 2 shown]
	v_dual_mov_b32 v0, v68 :: v_dual_mov_b32 v1, v69
	v_dual_mov_b32 v2, v70 :: v_dual_mov_b32 v3, v71
	;; [unrolled: 1-line block ×16, first 2 shown]
	s_clause 0x7
	scratch_store_b128 off, v[90:93], off offset:128
	scratch_store_b128 off, v[94:97], off offset:144
	;; [unrolled: 1-line block ×8, first 2 shown]
.LBB18_96:
	s_or_b32 exec_lo, exec_lo, s0
	v_dual_mov_b32 v22, v216 :: v_dual_mov_b32 v23, v217
	s_mov_b32 s0, exec_lo
	v_cmpx_lt_f64_e32 v[216:217], v[50:51]
	s_cbranch_execz .LBB18_98
; %bb.97:
	s_clause 0x7
	scratch_load_b128 v[0:3], off, off offset:128
	scratch_load_b128 v[4:7], off, off offset:144
	;; [unrolled: 1-line block ×8, first 2 shown]
	s_waitcnt vmcnt(8)
	v_dual_mov_b32 v116, v232 :: v_dual_mov_b32 v117, v233
	v_dual_mov_b32 v112, v84 :: v_dual_mov_b32 v113, v85
	v_dual_mov_b32 v114, v82 :: v_dual_mov_b32 v115, v83
	v_dual_mov_b32 v118, v234 :: v_dual_mov_b32 v119, v235
	s_waitcnt vmcnt(5)
	v_dual_mov_b32 v109, v11 :: v_dual_mov_b32 v108, v10
	v_dual_mov_b32 v107, v9 :: v_dual_mov_b32 v106, v8
	;; [unrolled: 1-line block ×6, first 2 shown]
	s_waitcnt vmcnt(4)
	v_dual_mov_b32 v111, v13 :: v_dual_mov_b32 v110, v12
	s_clause 0x7
	scratch_load_b128 v[0:3], off, off
	scratch_load_b128 v[4:7], off, off offset:16
	scratch_load_b128 v[8:11], off, off offset:32
	;; [unrolled: 1-line block ×7, first 2 shown]
	s_waitcnt vmcnt(4)
	v_dual_mov_b32 v14, v216 :: v_dual_mov_b32 v15, v217
	s_waitcnt vmcnt(3)
	v_dual_mov_b32 v16, v50 :: v_dual_mov_b32 v17, v51
	s_waitcnt vmcnt(0)
	s_clause 0x7
	scratch_store_b128 off, v[0:3], off
	scratch_store_b128 off, v[4:7], off offset:16
	scratch_store_b128 off, v[8:11], off offset:32
	;; [unrolled: 1-line block ×7, first 2 shown]
	v_dual_mov_b32 v0, v98 :: v_dual_mov_b32 v1, v99
	v_dual_mov_b32 v22, v120 :: v_dual_mov_b32 v23, v121
	;; [unrolled: 1-line block ×18, first 2 shown]
.LBB18_98:
	s_or_b32 exec_lo, exec_lo, s0
	s_clause 0xf
	scratch_load_b128 v[58:61], off, off offset:256
	scratch_load_b128 v[62:65], off, off offset:272
	;; [unrolled: 1-line block ×8, first 2 shown]
	scratch_load_b128 v[63:66], off, off
	scratch_load_b128 v[67:70], off, off offset:16
	scratch_load_b128 v[71:74], off, off offset:32
	;; [unrolled: 1-line block ×7, first 2 shown]
	v_cmp_lt_f64_e32 vcc_lo, v[162:163], v[52:53]
	v_cmp_lt_f64_e64 s2, v[48:49], v[56:57]
	v_cmp_lt_f64_e64 s1, v[46:47], v[54:55]
	;; [unrolled: 1-line block ×3, first 2 shown]
	s_waitcnt vmcnt(14)
	v_dual_cndmask_b32 v59, v20, v18 :: v_dual_cndmask_b32 v62, v19, v21
	v_dual_mov_b32 v24, v60 :: v_dual_mov_b32 v25, v61
	s_waitcnt vmcnt(2)
	v_cndmask_b32_e32 v58, v84, v53, vcc_lo
	v_cndmask_b32_e64 v40, v74, v57, s2
	v_cndmask_b32_e32 v57, v83, v52, vcc_lo
	v_dual_cndmask_b32 v53, v53, v163 :: v_dual_cndmask_b32 v52, v52, v162
	v_cmp_lt_f64_e64 s0, v[24:25], v[164:165]
	v_cndmask_b32_e64 v31, v70, v55, s1
	v_cndmask_b32_e32 v45, v81, v162, vcc_lo
	v_cndmask_b32_e32 v55, v82, v163, vcc_lo
	v_cmp_lt_f64_e64 s4, v[52:53], v[22:23]
	v_dual_cndmask_b32 v61, v18, v20 :: v_dual_cndmask_b32 v60, v21, v19
	v_cndmask_b32_e64 v30, v69, v54, s1
	v_cndmask_b32_e64 v29, v68, v47, s1
	;; [unrolled: 1-line block ×34, first 2 shown]
	s_clause 0x3
	global_store_b128 v[34:35], v[24:27], off
	global_store_b128 v[34:35], v[28:31], off offset:16
	global_store_b128 v[34:35], v[37:40], off offset:32
	;; [unrolled: 1-line block ×3, first 2 shown]
	s_clause 0x1
	global_store_b128 v[32:33], v[18:21], off
	global_store_b128 v[32:33], v[0:3], off offset:16
	v_cndmask_b32_e64 v3, v62, v17, s4
	v_cndmask_b32_e64 v2, v61, v16, s4
	;; [unrolled: 1-line block ×4, first 2 shown]
	s_clause 0x1
	global_store_b128 v[32:33], v[4:7], off offset:32
	global_store_b128 v[32:33], v[8:11], off offset:48
	s_clause 0x1
	global_store_b128 v[34:35], v[12:15], off offset:64
	global_store_b64 v[34:35], v[57:58], off offset:80
	s_clause 0x1
	global_store_b128 v[32:33], v[0:3], off offset:64
	global_store_b64 v[32:33], v[59:60], off offset:80
	s_endpgm
	.section	.rodata,"a",@progbits
	.p2align	6, 0x0
	.amdhsa_kernel _Z16sort_keys_valuesILj256ELj11EdxN10test_utils4lessEEvPT1_PT2_T3_
		.amdhsa_group_segment_fixed_size 0
		.amdhsa_private_segment_fixed_size 2052
		.amdhsa_kernarg_size 20
		.amdhsa_user_sgpr_count 15
		.amdhsa_user_sgpr_dispatch_ptr 0
		.amdhsa_user_sgpr_queue_ptr 0
		.amdhsa_user_sgpr_kernarg_segment_ptr 1
		.amdhsa_user_sgpr_dispatch_id 0
		.amdhsa_user_sgpr_private_segment_size 0
		.amdhsa_wavefront_size32 1
		.amdhsa_uses_dynamic_stack 0
		.amdhsa_enable_private_segment 1
		.amdhsa_system_sgpr_workgroup_id_x 1
		.amdhsa_system_sgpr_workgroup_id_y 0
		.amdhsa_system_sgpr_workgroup_id_z 0
		.amdhsa_system_sgpr_workgroup_info 0
		.amdhsa_system_vgpr_workitem_id 0
		.amdhsa_next_free_vgpr 256
		.amdhsa_next_free_sgpr 16
		.amdhsa_reserve_vcc 1
		.amdhsa_float_round_mode_32 0
		.amdhsa_float_round_mode_16_64 0
		.amdhsa_float_denorm_mode_32 3
		.amdhsa_float_denorm_mode_16_64 3
		.amdhsa_dx10_clamp 1
		.amdhsa_ieee_mode 1
		.amdhsa_fp16_overflow 0
		.amdhsa_workgroup_processor_mode 1
		.amdhsa_memory_ordered 1
		.amdhsa_forward_progress 0
		.amdhsa_shared_vgpr_count 0
		.amdhsa_exception_fp_ieee_invalid_op 0
		.amdhsa_exception_fp_denorm_src 0
		.amdhsa_exception_fp_ieee_div_zero 0
		.amdhsa_exception_fp_ieee_overflow 0
		.amdhsa_exception_fp_ieee_underflow 0
		.amdhsa_exception_fp_ieee_inexact 0
		.amdhsa_exception_int_div_zero 0
	.end_amdhsa_kernel
	.section	.text._Z16sort_keys_valuesILj256ELj11EdxN10test_utils4lessEEvPT1_PT2_T3_,"axG",@progbits,_Z16sort_keys_valuesILj256ELj11EdxN10test_utils4lessEEvPT1_PT2_T3_,comdat
.Lfunc_end18:
	.size	_Z16sort_keys_valuesILj256ELj11EdxN10test_utils4lessEEvPT1_PT2_T3_, .Lfunc_end18-_Z16sort_keys_valuesILj256ELj11EdxN10test_utils4lessEEvPT1_PT2_T3_
                                        ; -- End function
	.section	.AMDGPU.csdata,"",@progbits
; Kernel info:
; codeLenInByte = 62200
; NumSgprs: 18
; NumVgprs: 256
; ScratchSize: 2052
; MemoryBound: 1
; FloatMode: 240
; IeeeMode: 1
; LDSByteSize: 0 bytes/workgroup (compile time only)
; SGPRBlocks: 2
; VGPRBlocks: 31
; NumSGPRsForWavesPerEU: 18
; NumVGPRsForWavesPerEU: 256
; Occupancy: 5
; WaveLimiterHint : 0
; COMPUTE_PGM_RSRC2:SCRATCH_EN: 1
; COMPUTE_PGM_RSRC2:USER_SGPR: 15
; COMPUTE_PGM_RSRC2:TRAP_HANDLER: 0
; COMPUTE_PGM_RSRC2:TGID_X_EN: 1
; COMPUTE_PGM_RSRC2:TGID_Y_EN: 0
; COMPUTE_PGM_RSRC2:TGID_Z_EN: 0
; COMPUTE_PGM_RSRC2:TIDIG_COMP_CNT: 0
	.section	.text._Z16sort_keys_valuesILj256ELj10EhiN10test_utils4lessEEvPT1_PT2_T3_,"axG",@progbits,_Z16sort_keys_valuesILj256ELj10EhiN10test_utils4lessEEvPT1_PT2_T3_,comdat
	.protected	_Z16sort_keys_valuesILj256ELj10EhiN10test_utils4lessEEvPT1_PT2_T3_ ; -- Begin function _Z16sort_keys_valuesILj256ELj10EhiN10test_utils4lessEEvPT1_PT2_T3_
	.globl	_Z16sort_keys_valuesILj256ELj10EhiN10test_utils4lessEEvPT1_PT2_T3_
	.p2align	8
	.type	_Z16sort_keys_valuesILj256ELj10EhiN10test_utils4lessEEvPT1_PT2_T3_,@function
_Z16sort_keys_valuesILj256ELj10EhiN10test_utils4lessEEvPT1_PT2_T3_: ; @_Z16sort_keys_valuesILj256ELj10EhiN10test_utils4lessEEvPT1_PT2_T3_
; %bb.0:
	s_load_b128 s[0:3], s[0:1], 0x0
	s_mul_i32 s4, s15, 0xa00
	v_mul_u32_u24_e32 v0, 10, v0
	s_mov_b32 s5, 0
	s_waitcnt lgkmcnt(0)
	s_add_u32 s8, s0, s4
	s_addc_u32 s9, s1, 0
	s_lshl_b64 s[0:1], s[4:5], 2
	global_load_b64 v[10:11], v0, s[8:9]
	s_add_u32 s10, s2, s0
	s_addc_u32 s11, s3, s1
	s_waitcnt vmcnt(0)
	v_lshrrev_b32_e32 v15, 8, v10
	v_and_b32_e32 v16, 0xff, v10
	v_perm_b32 v21, v11, v11, 0x7060405
	s_delay_alu instid0(VALU_DEP_3) | instskip(SKIP_1) | instid1(VALU_DEP_2)
	v_and_b32_e32 v17, 0xff, v15
	v_perm_b32 v15, v15, v10, 0x3020004
	v_cmp_lt_u16_e32 vcc_lo, v17, v16
	v_lshlrev_b32_e32 v1, 2, v0
	v_lshrrev_b32_e32 v17, 8, v11
	s_clause 0x1
	global_load_b128 v[2:5], v1, s[10:11]
	global_load_b128 v[6:9], v1, s[10:11] offset:16
	global_load_u16 v14, v0, s[8:9] offset:8
	global_load_b64 v[12:13], v1, s[10:11] offset:32
	v_dual_cndmask_b32 v10, v10, v15 :: v_dual_and_b32 v17, 0xff, v17
	v_and_b32_e32 v19, 0xff, v11
	s_delay_alu instid0(VALU_DEP_2) | instskip(SKIP_1) | instid1(VALU_DEP_3)
	v_lshrrev_b32_e32 v15, 16, v10
	v_lshrrev_b32_e32 v20, 24, v10
	v_cmp_lt_u16_e64 s0, v17, v19
	s_delay_alu instid0(VALU_DEP_3) | instskip(NEXT) | instid1(VALU_DEP_2)
	v_perm_b32 v18, 0, v15, 0xc0c0001
	v_cndmask_b32_e64 v11, v11, v21, s0
	s_delay_alu instid0(VALU_DEP_1) | instskip(NEXT) | instid1(VALU_DEP_3)
	v_perm_b32 v21, v11, v11, 0x6070504
	v_lshlrev_b32_e32 v18, 16, v18
	s_waitcnt vmcnt(3)
	v_cndmask_b32_e32 v16, v2, v3, vcc_lo
	s_waitcnt vmcnt(2)
	v_cndmask_b32_e64 v17, v7, v6, s0
	v_dual_cndmask_b32 v2, v3, v2 :: v_dual_and_b32 v15, 0xff, v15
	v_lshrrev_b32_e32 v3, 24, v11
	v_cndmask_b32_e64 v6, v6, v7, s0
	s_waitcnt vmcnt(1)
	v_lshrrev_b32_e32 v22, 8, v14
	v_cmp_lt_u16_e64 s1, v20, v15
	v_and_or_b32 v15, 0xffff, v10, v18
	s_delay_alu instid0(VALU_DEP_2) | instskip(NEXT) | instid1(VALU_DEP_2)
	v_cndmask_b32_e64 v18, v5, v4, s1
	v_cndmask_b32_e64 v10, v10, v15, s1
	v_lshrrev_b32_e32 v15, 16, v11
	v_cndmask_b32_e64 v4, v4, v5, s1
	s_delay_alu instid0(VALU_DEP_3) | instskip(SKIP_1) | instid1(VALU_DEP_4)
	v_lshrrev_b32_e32 v19, 16, v10
	v_lshrrev_b32_e32 v20, 8, v10
	v_and_b32_e32 v15, 0xff, v15
	s_delay_alu instid0(VALU_DEP_3) | instskip(NEXT) | instid1(VALU_DEP_3)
	v_and_b32_e32 v19, 0xff, v19
	v_and_b32_e32 v20, 0xff, v20
	s_delay_alu instid0(VALU_DEP_3) | instskip(SKIP_1) | instid1(VALU_DEP_3)
	v_cmp_lt_u16_e32 vcc_lo, v3, v15
	v_perm_b32 v3, v10, v10, 0x7050604
	v_cmp_lt_u16_e64 s1, v19, v20
	v_cndmask_b32_e32 v11, v11, v21, vcc_lo
	v_dual_cndmask_b32 v5, v9, v8 :: v_dual_cndmask_b32 v8, v8, v9
	s_delay_alu instid0(VALU_DEP_3) | instskip(NEXT) | instid1(VALU_DEP_3)
	v_cndmask_b32_e64 v3, v10, v3, s1
	v_and_b32_e32 v10, 0xff, v11
	v_cndmask_b32_e64 v15, v4, v2, s1
	v_cndmask_b32_e64 v2, v2, v4, s1
	s_delay_alu instid0(VALU_DEP_4) | instskip(SKIP_1) | instid1(VALU_DEP_2)
	v_lshrrev_b32_e32 v19, 24, v3
	v_perm_b32 v7, v3, v11, 0x3020107
	v_cmp_lt_u16_e64 s0, v10, v19
	v_lshrrev_b32_e32 v10, 16, v3
	s_delay_alu instid0(VALU_DEP_2) | instskip(SKIP_1) | instid1(VALU_DEP_3)
	v_cndmask_b32_e64 v7, v11, v7, s0
	v_lshlrev_b16 v11, 8, v11
	v_and_b32_e32 v10, 0xff, v10
	v_cndmask_b32_e64 v19, v6, v18, s0
	v_cndmask_b32_e64 v6, v18, v6, s0
	v_lshrrev_b32_e32 v20, 16, v7
	v_lshrrev_b32_e32 v21, 8, v7
	v_or_b32_e32 v10, v10, v11
	s_delay_alu instid0(VALU_DEP_3) | instskip(NEXT) | instid1(VALU_DEP_3)
	v_and_b32_e32 v11, 0xff, v20
	v_and_b32_e32 v20, 0xff, v21
	s_delay_alu instid0(VALU_DEP_3) | instskip(SKIP_1) | instid1(VALU_DEP_3)
	v_lshlrev_b32_e32 v9, 16, v10
	v_perm_b32 v10, v7, v7, 0x7050604
	v_cmp_lt_u16_e32 vcc_lo, v11, v20
	v_perm_b32 v11, 0, v14, 0xc0c0001
	s_delay_alu instid0(VALU_DEP_4)
	v_and_or_b32 v9, 0xffff, v3, v9
	v_cndmask_b32_e32 v20, v8, v17, vcc_lo
	v_dual_cndmask_b32 v8, v17, v8 :: v_dual_and_b32 v23, 0xff, v14
	v_and_b32_e32 v21, 0xff, v22
	v_cndmask_b32_e32 v7, v7, v10, vcc_lo
	v_cndmask_b32_e64 v3, v3, v9, s0
	s_delay_alu instid0(VALU_DEP_3) | instskip(NEXT) | instid1(VALU_DEP_3)
	v_cmp_lt_u16_e64 s2, v21, v23
	v_lshrrev_b32_e32 v9, 16, v7
	s_delay_alu instid0(VALU_DEP_3)
	v_lshrrev_b32_e32 v21, 8, v3
	v_perm_b32 v22, 0, v3, 0xc0c0001
	v_and_b32_e32 v23, 0xff, v3
	v_cndmask_b32_e64 v11, v14, v11, s2
	v_and_b32_e32 v9, 0xff, v9
	v_and_b32_e32 v21, 0xff, v21
	v_and_or_b32 v4, 0xffff0000, v3, v22
	s_waitcnt vmcnt(0)
	v_cndmask_b32_e64 v10, v13, v12, s2
	v_lshlrev_b16 v14, 8, v11
	v_cndmask_b32_e64 v12, v12, v13, s2
	v_cmp_lt_u16_e64 s1, v21, v23
	v_lshrrev_b32_e32 v21, 24, v7
	s_delay_alu instid0(VALU_DEP_4) | instskip(SKIP_1) | instid1(VALU_DEP_4)
	v_or_b32_e32 v9, v9, v14
	v_and_b32_e32 v14, 0xff, v11
	v_cndmask_b32_e64 v3, v3, v4, s1
	v_cndmask_b32_e64 v13, v16, v2, s1
	;; [unrolled: 1-line block ×3, first 2 shown]
	v_lshlrev_b32_e32 v9, 16, v9
	v_cmp_lt_u16_e64 s2, v14, v21
	v_lshrrev_b32_e32 v18, 24, v3
	s_delay_alu instid0(VALU_DEP_3) | instskip(SKIP_1) | instid1(VALU_DEP_4)
	v_and_or_b32 v4, 0xffff, v7, v9
	v_lshrrev_b32_e32 v9, 16, v3
	v_cndmask_b32_e64 v14, v12, v5, s2
	v_cndmask_b32_e64 v5, v5, v12, s2
	s_delay_alu instid0(VALU_DEP_4) | instskip(NEXT) | instid1(VALU_DEP_4)
	v_cndmask_b32_e64 v4, v7, v4, s2
	v_perm_b32 v7, 0, v9, 0xc0c0001
	v_and_b32_e32 v9, 0xff, v9
	s_delay_alu instid0(VALU_DEP_3) | instskip(NEXT) | instid1(VALU_DEP_3)
	v_lshrrev_b32_e32 v22, 8, v4
	v_lshlrev_b32_e32 v7, 16, v7
	v_and_b32_e32 v23, 0xff, v4
	v_perm_b32 v17, v4, v4, 0x7060405
	v_cmp_lt_u16_e64 s0, v18, v9
	v_and_b32_e32 v22, 0xff, v22
	v_and_or_b32 v7, 0xffff, v3, v7
	s_delay_alu instid0(VALU_DEP_3) | instskip(NEXT) | instid1(VALU_DEP_3)
	v_cndmask_b32_e64 v9, v6, v15, s0
	v_cmp_lt_u16_e32 vcc_lo, v22, v23
	s_delay_alu instid0(VALU_DEP_3) | instskip(SKIP_3) | instid1(VALU_DEP_4)
	v_cndmask_b32_e64 v3, v3, v7, s0
	v_and_b32_e32 v7, 0xffffff00, v11
	v_cndmask_b32_e64 v6, v15, v6, s0
	v_cndmask_b32_e32 v4, v4, v17, vcc_lo
	v_lshrrev_b32_e32 v22, 16, v3
	v_lshrrev_b32_e32 v23, 8, v3
	v_perm_b32 v24, v3, v3, 0x7050604
	v_or_b32_e32 v7, v21, v7
	v_lshrrev_b32_e32 v17, 16, v4
	v_lshrrev_b32_e32 v12, 24, v4
	v_and_b32_e32 v22, 0xff, v22
	v_and_b32_e32 v23, 0xff, v23
	v_perm_b32 v25, v4, v4, 0x6070504
	v_and_b32_e32 v17, 0xff, v17
	v_and_b32_e32 v7, 0xffff, v7
	v_cndmask_b32_e32 v18, v8, v19, vcc_lo
	v_cmp_lt_u16_e64 s4, v22, v23
	v_cndmask_b32_e32 v8, v19, v8, vcc_lo
	v_cmp_lt_u16_e64 s3, v12, v17
	v_cndmask_b32_e64 v7, v11, v7, s2
	s_delay_alu instid0(VALU_DEP_4) | instskip(NEXT) | instid1(VALU_DEP_3)
	v_cndmask_b32_e64 v3, v3, v24, s4
	v_cndmask_b32_e64 v4, v4, v25, s3
	s_delay_alu instid0(VALU_DEP_3) | instskip(SKIP_1) | instid1(VALU_DEP_4)
	v_perm_b32 v25, 0, v7, 0xc0c0001
	v_cndmask_b32_e64 v12, v5, v20, s3
	v_lshrrev_b32_e32 v21, 24, v3
	v_lshrrev_b32_e32 v17, 16, v3
	v_and_b32_e32 v22, 0xff, v4
	v_perm_b32 v23, v3, v4, 0x3020107
	v_cndmask_b32_e64 v5, v20, v5, s3
	s_delay_alu instid0(VALU_DEP_4) | instskip(NEXT) | instid1(VALU_DEP_4)
	v_and_b32_e32 v11, 0xff, v17
	v_cmp_lt_u16_e64 s2, v22, v21
	v_lshlrev_b16 v17, 8, v4
	v_lshrrev_b32_e32 v21, 8, v7
	s_delay_alu instid0(VALU_DEP_3) | instskip(NEXT) | instid1(VALU_DEP_3)
	v_cndmask_b32_e64 v4, v4, v23, s2
	v_or_b32_e32 v11, v11, v17
	v_and_b32_e32 v23, 0xff, v7
	s_delay_alu instid0(VALU_DEP_4) | instskip(NEXT) | instid1(VALU_DEP_4)
	v_and_b32_e32 v21, 0xff, v21
	v_lshrrev_b32_e32 v17, 16, v4
	v_lshrrev_b32_e32 v22, 8, v4
	v_lshlrev_b32_e32 v11, 16, v11
	v_perm_b32 v24, v4, v4, 0x7050604
	v_cmp_lt_u16_e64 s5, v21, v23
	v_and_b32_e32 v17, 0xff, v17
	v_and_b32_e32 v22, 0xff, v22
	v_and_or_b32 v11, 0xffff, v3, v11
	v_cndmask_b32_e64 v23, v2, v6, s4
	v_cndmask_b32_e64 v7, v7, v25, s5
	;; [unrolled: 1-line block ×3, first 2 shown]
	v_cmp_lt_u16_e64 s6, v17, v22
	v_cndmask_b32_e64 v3, v3, v11, s2
	v_cndmask_b32_e64 v17, v10, v14, s5
	v_lshlrev_b16 v16, 8, v7
	v_cndmask_b32_e64 v10, v14, v10, s5
	v_cndmask_b32_e64 v4, v4, v24, s6
	v_lshrrev_b32_e32 v21, 8, v3
	v_perm_b32 v15, 0, v3, 0xc0c0001
	v_and_b32_e32 v22, 0xff, v3
	s_delay_alu instid0(VALU_DEP_4) | instskip(NEXT) | instid1(VALU_DEP_4)
	v_lshrrev_b32_e32 v11, 16, v4
	v_and_b32_e32 v21, 0xff, v21
	s_delay_alu instid0(VALU_DEP_4) | instskip(NEXT) | instid1(VALU_DEP_3)
	v_and_or_b32 v15, 0xffff0000, v3, v15
	v_and_b32_e32 v11, 0xff, v11
	s_delay_alu instid0(VALU_DEP_3)
	v_cmp_lt_u16_e64 s0, v21, v22
	v_lshrrev_b32_e32 v21, 24, v4
	v_cndmask_b32_e64 v22, v18, v5, s6
	v_cndmask_b32_e64 v5, v5, v18, s6
	v_or_b32_e32 v11, v11, v16
	v_and_b32_e32 v16, 0xff, v7
	v_cndmask_b32_e64 v3, v3, v15, s0
	v_cndmask_b32_e64 v14, v13, v23, s0
	;; [unrolled: 1-line block ×3, first 2 shown]
	v_lshlrev_b32_e32 v11, 16, v11
	v_cmp_lt_u16_e64 s1, v16, v21
	v_lshrrev_b32_e32 v15, 16, v3
	s_delay_alu instid0(VALU_DEP_3) | instskip(NEXT) | instid1(VALU_DEP_3)
	v_and_or_b32 v11, 0xffff, v4, v11
	v_cndmask_b32_e64 v16, v10, v12, s1
	s_delay_alu instid0(VALU_DEP_3)
	v_perm_b32 v6, 0, v15, 0xc0c0001
	v_and_b32_e32 v15, 0xff, v15
	v_cndmask_b32_e64 v10, v12, v10, s1
	v_cndmask_b32_e64 v4, v4, v11, s1
	;; [unrolled: 1-line block ×4, first 2 shown]
	v_lshrrev_b32_e32 v9, 24, v3
	v_lshlrev_b32_e32 v6, 16, v6
	v_lshrrev_b32_e32 v19, 8, v4
	v_and_b32_e32 v20, 0xff, v4
	v_perm_b32 v24, v4, v4, 0x7060405
	v_cmp_lt_u16_e64 s2, v9, v15
	v_and_or_b32 v6, 0xffff, v3, v6
	v_and_b32_e32 v19, 0xff, v19
	s_delay_alu instid0(VALU_DEP_3) | instskip(NEXT) | instid1(VALU_DEP_3)
	v_cndmask_b32_e64 v9, v8, v2, s2
	v_cndmask_b32_e64 v3, v3, v6, s2
	s_delay_alu instid0(VALU_DEP_3) | instskip(SKIP_2) | instid1(VALU_DEP_4)
	v_cmp_lt_u16_e32 vcc_lo, v19, v20
	v_and_b32_e32 v6, 0xffffff00, v7
	v_cndmask_b32_e64 v2, v2, v8, s2
	v_lshrrev_b32_e32 v19, 16, v3
	v_cndmask_b32_e32 v4, v4, v24, vcc_lo
	v_lshrrev_b32_e32 v20, 8, v3
	v_perm_b32 v24, v3, v3, 0x7050604
	v_or_b32_e32 v6, v21, v6
	v_and_b32_e32 v19, 0xff, v19
	v_lshrrev_b32_e32 v18, 16, v4
	v_lshrrev_b32_e32 v12, 24, v4
	v_and_b32_e32 v20, 0xff, v20
	v_perm_b32 v25, v4, v4, 0x6070504
	v_and_b32_e32 v6, 0xffff, v6
	v_dual_cndmask_b32 v15, v22, v11 :: v_dual_and_b32 v18, 0xff, v18
	s_delay_alu instid0(VALU_DEP_4) | instskip(NEXT) | instid1(VALU_DEP_3)
	v_cmp_lt_u16_e64 s4, v19, v20
	v_cndmask_b32_e64 v6, v7, v6, s1
	s_delay_alu instid0(VALU_DEP_3) | instskip(NEXT) | instid1(VALU_DEP_3)
	v_cmp_lt_u16_e64 s3, v12, v18
	v_cndmask_b32_e64 v3, v3, v24, s4
	v_cndmask_b32_e64 v23, v13, v2, s4
	;; [unrolled: 1-line block ×3, first 2 shown]
	s_delay_alu instid0(VALU_DEP_4)
	v_cndmask_b32_e64 v4, v4, v25, s3
	v_perm_b32 v25, 0, v6, 0xc0c0001
	v_lshrrev_b32_e32 v19, 24, v3
	v_lshrrev_b32_e32 v18, 16, v3
	v_cndmask_b32_e64 v12, v10, v5, s3
	v_and_b32_e32 v20, 0xff, v4
	v_perm_b32 v21, v3, v4, 0x3020107
	v_cndmask_b32_e64 v5, v5, v10, s3
	v_and_b32_e32 v7, 0xff, v18
	v_lshlrev_b16 v18, 8, v4
	v_cmp_lt_u16_e64 s1, v20, v19
	v_lshrrev_b32_e32 v19, 8, v6
	s_delay_alu instid0(VALU_DEP_3) | instskip(NEXT) | instid1(VALU_DEP_3)
	v_or_b32_e32 v7, v7, v18
	v_cndmask_b32_e64 v4, v4, v21, s1
	v_and_b32_e32 v21, 0xff, v6
	s_delay_alu instid0(VALU_DEP_4) | instskip(NEXT) | instid1(VALU_DEP_4)
	v_and_b32_e32 v19, 0xff, v19
	v_lshlrev_b32_e32 v7, 16, v7
	s_delay_alu instid0(VALU_DEP_4)
	v_lshrrev_b32_e32 v18, 16, v4
	v_lshrrev_b32_e32 v20, 8, v4
	v_perm_b32 v24, v4, v4, 0x7050604
	v_cmp_lt_u16_e64 s5, v19, v21
	v_and_or_b32 v7, 0xffff, v3, v7
	v_and_b32_e32 v18, 0xff, v18
	v_and_b32_e32 v20, 0xff, v20
	s_delay_alu instid0(VALU_DEP_4) | instskip(NEXT) | instid1(VALU_DEP_4)
	v_cndmask_b32_e64 v6, v6, v25, s5
	v_cndmask_b32_e64 v3, v3, v7, s1
	s_delay_alu instid0(VALU_DEP_3) | instskip(SKIP_1) | instid1(VALU_DEP_4)
	v_cmp_lt_u16_e64 s6, v18, v20
	v_cndmask_b32_e64 v18, v17, v16, s5
	v_lshlrev_b16 v19, 8, v6
	s_delay_alu instid0(VALU_DEP_4)
	v_lshrrev_b32_e32 v20, 8, v3
	v_perm_b32 v8, 0, v3, 0xc0c0001
	v_cndmask_b32_e64 v4, v4, v24, s6
	v_and_b32_e32 v21, 0xff, v3
	v_cndmask_b32_e64 v16, v16, v17, s5
	v_and_b32_e32 v20, 0xff, v20
	v_and_or_b32 v8, 0xffff0000, v3, v8
	v_lshrrev_b32_e32 v7, 16, v4
	s_delay_alu instid0(VALU_DEP_3) | instskip(SKIP_1) | instid1(VALU_DEP_3)
	v_cmp_lt_u16_e64 s0, v20, v21
	v_lshrrev_b32_e32 v20, 24, v4
	v_and_b32_e32 v7, 0xff, v7
	s_delay_alu instid0(VALU_DEP_3) | instskip(SKIP_1) | instid1(VALU_DEP_3)
	v_cndmask_b32_e64 v3, v3, v8, s0
	v_cndmask_b32_e32 v8, v11, v22, vcc_lo
	v_or_b32_e32 v7, v7, v19
	v_and_b32_e32 v19, 0xff, v6
	v_cndmask_b32_e64 v22, v15, v5, s6
	v_lshrrev_b32_e32 v11, 16, v3
	v_cndmask_b32_e64 v10, v8, v9, s1
	v_lshlrev_b32_e32 v7, 16, v7
	v_cmp_lt_u16_e64 s2, v19, v20
	v_cndmask_b32_e64 v8, v9, v8, s1
	v_lshrrev_b32_e32 v9, 24, v3
	v_cndmask_b32_e64 v5, v5, v15, s6
	v_and_or_b32 v7, 0xffff, v4, v7
	v_cndmask_b32_e64 v19, v16, v12, s2
	v_cndmask_b32_e64 v12, v12, v16, s2
	;; [unrolled: 1-line block ×3, first 2 shown]
	s_delay_alu instid0(VALU_DEP_4) | instskip(SKIP_2) | instid1(VALU_DEP_3)
	v_cndmask_b32_e64 v4, v4, v7, s2
	v_perm_b32 v7, 0, v11, 0xc0c0001
	v_and_b32_e32 v11, 0xff, v11
	v_lshrrev_b32_e32 v13, 8, v4
	s_delay_alu instid0(VALU_DEP_3)
	v_lshlrev_b32_e32 v7, 16, v7
	v_and_b32_e32 v21, 0xff, v4
	v_perm_b32 v24, v4, v4, 0x7060405
	v_cmp_lt_u16_e64 s1, v9, v11
	v_and_b32_e32 v13, 0xff, v13
	v_and_or_b32 v7, 0xffff, v3, v7
	s_delay_alu instid0(VALU_DEP_3) | instskip(NEXT) | instid1(VALU_DEP_3)
	v_cndmask_b32_e64 v9, v8, v2, s1
	v_cmp_lt_u16_e32 vcc_lo, v13, v21
	s_delay_alu instid0(VALU_DEP_3) | instskip(SKIP_3) | instid1(VALU_DEP_4)
	v_cndmask_b32_e64 v3, v3, v7, s1
	v_and_b32_e32 v7, 0xffffff00, v6
	v_cndmask_b32_e64 v8, v2, v8, s1
	v_cndmask_b32_e32 v4, v4, v24, vcc_lo
	v_lshrrev_b32_e32 v15, 16, v3
	v_lshrrev_b32_e32 v21, 8, v3
	v_perm_b32 v24, v3, v3, 0x7050604
	v_or_b32_e32 v7, v20, v7
	v_lshrrev_b32_e32 v13, 16, v4
	v_lshrrev_b32_e32 v16, 24, v4
	v_and_b32_e32 v15, 0xff, v15
	v_and_b32_e32 v21, 0xff, v21
	v_perm_b32 v25, v4, v4, 0x6070504
	v_and_b32_e32 v13, 0xff, v13
	v_and_b32_e32 v7, 0xffff, v7
	v_cndmask_b32_e32 v11, v22, v10, vcc_lo
	v_cmp_lt_u16_e64 s4, v15, v21
	v_cndmask_b32_e32 v10, v10, v22, vcc_lo
	v_cmp_lt_u16_e64 s3, v16, v13
	v_cndmask_b32_e64 v6, v6, v7, s2
	s_delay_alu instid0(VALU_DEP_4) | instskip(NEXT) | instid1(VALU_DEP_3)
	v_cndmask_b32_e64 v3, v3, v24, s4
	v_cndmask_b32_e64 v4, v4, v25, s3
	s_delay_alu instid0(VALU_DEP_3) | instskip(SKIP_1) | instid1(VALU_DEP_4)
	v_perm_b32 v25, 0, v6, 0xc0c0001
	v_cndmask_b32_e64 v13, v12, v5, s3
	v_lshrrev_b32_e32 v16, 24, v3
	v_lshrrev_b32_e32 v15, 16, v3
	v_and_b32_e32 v20, 0xff, v4
	v_perm_b32 v21, v3, v4, 0x3020107
	v_cndmask_b32_e64 v5, v5, v12, s3
	s_delay_alu instid0(VALU_DEP_4) | instskip(NEXT) | instid1(VALU_DEP_4)
	v_and_b32_e32 v7, 0xff, v15
	v_cmp_lt_u16_e64 s2, v20, v16
	v_lshlrev_b16 v15, 8, v4
	v_lshrrev_b32_e32 v16, 8, v6
	s_delay_alu instid0(VALU_DEP_3) | instskip(NEXT) | instid1(VALU_DEP_3)
	v_cndmask_b32_e64 v4, v4, v21, s2
	v_or_b32_e32 v7, v7, v15
	v_and_b32_e32 v21, 0xff, v6
	s_delay_alu instid0(VALU_DEP_4)
	v_and_b32_e32 v16, 0xff, v16
	v_cndmask_b32_e64 v12, v10, v9, s2
	v_lshrrev_b32_e32 v15, 16, v4
	v_lshrrev_b32_e32 v20, 8, v4
	v_lshlrev_b32_e32 v7, 16, v7
	v_perm_b32 v24, v4, v4, 0x7050604
	v_cmp_lt_u16_e64 s5, v16, v21
	v_and_b32_e32 v15, 0xff, v15
	v_and_b32_e32 v20, 0xff, v20
	v_and_or_b32 v7, 0xffff, v3, v7
	v_cndmask_b32_e64 v9, v9, v10, s2
	v_cndmask_b32_e64 v6, v6, v25, s5
	s_delay_alu instid0(VALU_DEP_4) | instskip(NEXT) | instid1(VALU_DEP_4)
	v_cmp_lt_u16_e64 s6, v15, v20
	v_cndmask_b32_e64 v3, v3, v7, s2
	v_cndmask_b32_e64 v7, v23, v14, s0
	s_delay_alu instid0(VALU_DEP_4)
	v_lshlrev_b16 v16, 8, v6
	v_cndmask_b32_e64 v15, v18, v19, s5
	v_cndmask_b32_e64 v4, v4, v24, s6
	v_lshrrev_b32_e32 v2, 8, v3
	v_perm_b32 v20, 0, v3, 0xc0c0001
	v_and_b32_e32 v21, 0xff, v3
	v_cndmask_b32_e64 v23, v7, v8, s4
	v_lshrrev_b32_e32 v14, 16, v4
	v_and_b32_e32 v2, 0xff, v2
	v_cndmask_b32_e64 v7, v8, v7, s4
	s_delay_alu instid0(VALU_DEP_3) | instskip(NEXT) | instid1(VALU_DEP_3)
	v_and_b32_e32 v14, 0xff, v14
	v_cmp_lt_u16_e64 s0, v2, v21
	v_lshrrev_b32_e32 v21, 24, v4
	s_delay_alu instid0(VALU_DEP_3) | instskip(SKIP_3) | instid1(VALU_DEP_4)
	v_or_b32_e32 v14, v14, v16
	v_and_or_b32 v16, 0xffff0000, v3, v20
	v_and_b32_e32 v20, 0xff, v6
	v_cndmask_b32_e64 v2, v17, v23, s0
	v_lshlrev_b32_e32 v14, 16, v14
	s_delay_alu instid0(VALU_DEP_4) | instskip(SKIP_2) | instid1(VALU_DEP_4)
	v_cndmask_b32_e64 v3, v3, v16, s0
	v_cndmask_b32_e64 v16, v19, v18, s5
	v_cmp_lt_u16_e64 s1, v20, v21
	v_and_or_b32 v14, 0xffff, v4, v14
	s_delay_alu instid0(VALU_DEP_4) | instskip(SKIP_1) | instid1(VALU_DEP_4)
	v_lshrrev_b32_e32 v18, 16, v3
	v_lshrrev_b32_e32 v19, 24, v3
	v_cndmask_b32_e64 v8, v16, v13, s1
	v_cndmask_b32_e64 v16, v13, v16, s1
	;; [unrolled: 1-line block ×3, first 2 shown]
	v_perm_b32 v14, 0, v18, 0xc0c0001
	v_and_b32_e32 v18, 0xff, v18
	s_delay_alu instid0(VALU_DEP_3) | instskip(NEXT) | instid1(VALU_DEP_3)
	v_lshrrev_b32_e32 v20, 8, v4
	v_lshlrev_b32_e32 v14, 16, v14
	v_and_b32_e32 v10, 0xff, v4
	s_delay_alu instid0(VALU_DEP_4)
	v_cmp_lt_u16_e32 vcc_lo, v19, v18
	v_perm_b32 v19, v4, v4, 0x7060405
	v_and_b32_e32 v20, 0xff, v20
	v_and_or_b32 v14, 0xffff, v3, v14
	v_cndmask_b32_e64 v18, v11, v5, s6
	v_cndmask_b32_e64 v5, v5, v11, s6
	s_delay_alu instid0(VALU_DEP_4) | instskip(NEXT) | instid1(VALU_DEP_4)
	v_cmp_lt_u16_e64 s2, v20, v10
	v_dual_cndmask_b32 v3, v3, v14 :: v_dual_cndmask_b32 v20, v9, v7
	v_cndmask_b32_e32 v7, v7, v9, vcc_lo
	s_delay_alu instid0(VALU_DEP_3) | instskip(NEXT) | instid1(VALU_DEP_3)
	v_cndmask_b32_e64 v4, v4, v19, s2
	v_lshrrev_b32_e32 v10, 16, v3
	v_lshrrev_b32_e32 v19, 8, v3
	v_perm_b32 v22, v3, v3, 0x7050604
	v_cndmask_b32_e64 v14, v18, v12, s2
	v_lshrrev_b32_e32 v11, 16, v4
	v_and_b32_e32 v10, 0xff, v10
	v_and_b32_e32 v19, 0xff, v19
	v_lshrrev_b32_e32 v24, 24, v4
	v_perm_b32 v13, v4, v4, 0x6070504
	v_and_b32_e32 v11, 0xff, v11
	v_cndmask_b32_e64 v12, v12, v18, s2
	v_cmp_lt_u16_e64 s3, v10, v19
	s_delay_alu instid0(VALU_DEP_3) | instskip(NEXT) | instid1(VALU_DEP_2)
	v_cmp_lt_u16_e64 s4, v24, v11
	v_cndmask_b32_e64 v3, v3, v22, s3
	s_delay_alu instid0(VALU_DEP_2) | instskip(SKIP_1) | instid1(VALU_DEP_3)
	v_cndmask_b32_e64 v4, v4, v13, s4
	v_and_b32_e32 v13, 0xffffff00, v6
	v_lshrrev_b32_e32 v10, 16, v3
	v_cndmask_b32_e64 v19, v16, v5, s4
	v_cndmask_b32_e64 v16, v5, v16, s4
	v_lshlrev_b16 v11, 8, v4
	v_perm_b32 v22, v3, v4, 0x3020107
	v_and_b32_e32 v10, 0xff, v10
	s_delay_alu instid0(VALU_DEP_1) | instskip(SKIP_3) | instid1(VALU_DEP_4)
	v_or_b32_e32 v10, v10, v11
	v_or_b32_e32 v11, v21, v13
	v_lshrrev_b32_e32 v13, 24, v3
	v_and_b32_e32 v21, 0xff, v4
	v_lshlrev_b32_e32 v10, 16, v10
	s_delay_alu instid0(VALU_DEP_4) | instskip(NEXT) | instid1(VALU_DEP_3)
	v_and_b32_e32 v11, 0xffff, v11
	v_cmp_lt_u16_e64 s5, v21, v13
	s_delay_alu instid0(VALU_DEP_3) | instskip(NEXT) | instid1(VALU_DEP_3)
	v_and_or_b32 v10, 0xffff, v3, v10
	v_cndmask_b32_e64 v6, v6, v11, s1
	s_delay_alu instid0(VALU_DEP_3) | instskip(NEXT) | instid1(VALU_DEP_3)
	v_cndmask_b32_e64 v5, v20, v12, s5
	v_cndmask_b32_e64 v10, v3, v10, s5
	v_cndmask_b32_e64 v3, v4, v22, s5
	s_delay_alu instid0(VALU_DEP_4) | instskip(SKIP_2) | instid1(VALU_DEP_4)
	v_lshrrev_b32_e32 v4, 8, v6
	v_and_b32_e32 v21, 0xff, v6
	v_perm_b32 v24, 0, v6, 0xc0c0001
	v_lshrrev_b32_e32 v11, 16, v3
	v_lshrrev_b32_e32 v13, 8, v3
	v_and_b32_e32 v4, 0xff, v4
	v_perm_b32 v22, v3, v3, 0x7050604
	s_delay_alu instid0(VALU_DEP_4) | instskip(NEXT) | instid1(VALU_DEP_4)
	v_and_b32_e32 v11, 0xff, v11
	v_and_b32_e32 v13, 0xff, v13
	s_delay_alu instid0(VALU_DEP_4) | instskip(NEXT) | instid1(VALU_DEP_2)
	v_cmp_lt_u16_e64 s1, v4, v21
	v_cmp_lt_u16_e64 s6, v11, v13
	s_delay_alu instid0(VALU_DEP_2)
	v_cndmask_b32_e64 v21, v6, v24, s1
	v_cndmask_b32_e64 v6, v23, v17, s0
	;; [unrolled: 1-line block ×5, first 2 shown]
	v_lshlrev_b16 v4, 8, v21
	v_and_b32_e32 v8, 0xffffff00, v21
	v_and_b32_e32 v15, 0xff, v21
	s_delay_alu instid0(VALU_DEP_4) | instskip(SKIP_1) | instid1(VALU_DEP_2)
	v_lshrrev_b32_e32 v3, 16, v11
	v_lshrrev_b32_e32 v18, 24, v11
	v_and_b32_e32 v3, 0xff, v3
	s_delay_alu instid0(VALU_DEP_2) | instskip(NEXT) | instid1(VALU_DEP_2)
	v_cmp_lt_u16_e32 vcc_lo, v15, v18
	v_or_b32_e32 v17, v3, v4
	v_cndmask_b32_e64 v4, v7, v6, s3
	v_cndmask_b32_e64 v3, v6, v7, s3
	v_cndmask_b32_e64 v6, v12, v20, s5
	v_dual_cndmask_b32 v12, v9, v19 :: v_dual_cndmask_b32 v9, v19, v9
	v_lshlrev_b32_e32 v7, 16, v17
	v_or_b32_e32 v17, v18, v8
	v_cndmask_b32_e64 v8, v16, v14, s6
	s_delay_alu instid0(VALU_DEP_3) | instskip(NEXT) | instid1(VALU_DEP_3)
	v_and_or_b32 v7, 0xffff, v11, v7
	v_cndmask_b32_e32 v15, v21, v17, vcc_lo
	s_delay_alu instid0(VALU_DEP_2)
	v_cndmask_b32_e32 v11, v11, v7, vcc_lo
	v_cndmask_b32_e64 v7, v14, v16, s6
	s_clause 0x1
	global_store_b16 v0, v15, s[8:9] offset:8
	global_store_b64 v0, v[10:11], s[8:9]
	s_clause 0x2
	global_store_b128 v1, v[2:5], s[10:11]
	global_store_b128 v1, v[6:9], s[10:11] offset:16
	global_store_b64 v1, v[12:13], s[10:11] offset:32
	s_nop 0
	s_sendmsg sendmsg(MSG_DEALLOC_VGPRS)
	s_endpgm
	.section	.rodata,"a",@progbits
	.p2align	6, 0x0
	.amdhsa_kernel _Z16sort_keys_valuesILj256ELj10EhiN10test_utils4lessEEvPT1_PT2_T3_
		.amdhsa_group_segment_fixed_size 0
		.amdhsa_private_segment_fixed_size 0
		.amdhsa_kernarg_size 20
		.amdhsa_user_sgpr_count 15
		.amdhsa_user_sgpr_dispatch_ptr 0
		.amdhsa_user_sgpr_queue_ptr 0
		.amdhsa_user_sgpr_kernarg_segment_ptr 1
		.amdhsa_user_sgpr_dispatch_id 0
		.amdhsa_user_sgpr_private_segment_size 0
		.amdhsa_wavefront_size32 1
		.amdhsa_uses_dynamic_stack 0
		.amdhsa_enable_private_segment 0
		.amdhsa_system_sgpr_workgroup_id_x 1
		.amdhsa_system_sgpr_workgroup_id_y 0
		.amdhsa_system_sgpr_workgroup_id_z 0
		.amdhsa_system_sgpr_workgroup_info 0
		.amdhsa_system_vgpr_workitem_id 0
		.amdhsa_next_free_vgpr 26
		.amdhsa_next_free_sgpr 16
		.amdhsa_reserve_vcc 1
		.amdhsa_float_round_mode_32 0
		.amdhsa_float_round_mode_16_64 0
		.amdhsa_float_denorm_mode_32 3
		.amdhsa_float_denorm_mode_16_64 3
		.amdhsa_dx10_clamp 1
		.amdhsa_ieee_mode 1
		.amdhsa_fp16_overflow 0
		.amdhsa_workgroup_processor_mode 1
		.amdhsa_memory_ordered 1
		.amdhsa_forward_progress 0
		.amdhsa_shared_vgpr_count 0
		.amdhsa_exception_fp_ieee_invalid_op 0
		.amdhsa_exception_fp_denorm_src 0
		.amdhsa_exception_fp_ieee_div_zero 0
		.amdhsa_exception_fp_ieee_overflow 0
		.amdhsa_exception_fp_ieee_underflow 0
		.amdhsa_exception_fp_ieee_inexact 0
		.amdhsa_exception_int_div_zero 0
	.end_amdhsa_kernel
	.section	.text._Z16sort_keys_valuesILj256ELj10EhiN10test_utils4lessEEvPT1_PT2_T3_,"axG",@progbits,_Z16sort_keys_valuesILj256ELj10EhiN10test_utils4lessEEvPT1_PT2_T3_,comdat
.Lfunc_end19:
	.size	_Z16sort_keys_valuesILj256ELj10EhiN10test_utils4lessEEvPT1_PT2_T3_, .Lfunc_end19-_Z16sort_keys_valuesILj256ELj10EhiN10test_utils4lessEEvPT1_PT2_T3_
                                        ; -- End function
	.section	.AMDGPU.csdata,"",@progbits
; Kernel info:
; codeLenInByte = 3796
; NumSgprs: 18
; NumVgprs: 26
; ScratchSize: 0
; MemoryBound: 0
; FloatMode: 240
; IeeeMode: 1
; LDSByteSize: 0 bytes/workgroup (compile time only)
; SGPRBlocks: 2
; VGPRBlocks: 3
; NumSGPRsForWavesPerEU: 18
; NumVGPRsForWavesPerEU: 26
; Occupancy: 16
; WaveLimiterHint : 0
; COMPUTE_PGM_RSRC2:SCRATCH_EN: 0
; COMPUTE_PGM_RSRC2:USER_SGPR: 15
; COMPUTE_PGM_RSRC2:TRAP_HANDLER: 0
; COMPUTE_PGM_RSRC2:TGID_X_EN: 1
; COMPUTE_PGM_RSRC2:TGID_Y_EN: 0
; COMPUTE_PGM_RSRC2:TGID_Z_EN: 0
; COMPUTE_PGM_RSRC2:TIDIG_COMP_CNT: 0
	.section	.text._Z16sort_keys_valuesILj256ELj9EycN10test_utils4lessEEvPT1_PT2_T3_,"axG",@progbits,_Z16sort_keys_valuesILj256ELj9EycN10test_utils4lessEEvPT1_PT2_T3_,comdat
	.protected	_Z16sort_keys_valuesILj256ELj9EycN10test_utils4lessEEvPT1_PT2_T3_ ; -- Begin function _Z16sort_keys_valuesILj256ELj9EycN10test_utils4lessEEvPT1_PT2_T3_
	.globl	_Z16sort_keys_valuesILj256ELj9EycN10test_utils4lessEEvPT1_PT2_T3_
	.p2align	8
	.type	_Z16sort_keys_valuesILj256ELj9EycN10test_utils4lessEEvPT1_PT2_T3_,@function
_Z16sort_keys_valuesILj256ELj9EycN10test_utils4lessEEvPT1_PT2_T3_: ; @_Z16sort_keys_valuesILj256ELj9EycN10test_utils4lessEEvPT1_PT2_T3_
; %bb.0:
	s_load_b128 s[0:3], s[0:1], 0x0
	s_mov_b32 s5, 0
	s_mul_i32 s4, s15, 0x900
	v_mul_u32_u24_e32 v0, 9, v0
	s_lshl_b64 s[6:7], s[4:5], 3
	s_waitcnt lgkmcnt(0)
	s_add_u32 s6, s0, s6
	s_addc_u32 s7, s1, s7
	s_add_u32 s8, s2, s4
	s_addc_u32 s9, s3, 0
	global_load_b64 v[18:19], v0, s[8:9]
	s_waitcnt vmcnt(0)
	v_lshrrev_b32_e32 v22, 8, v18
	v_perm_b32 v23, v19, v19, 0x7060405
	s_delay_alu instid0(VALU_DEP_2)
	v_perm_b32 v22, v22, v18, 0x3020004
	v_lshlrev_b32_e32 v1, 3, v0
	s_clause 0x3
	global_load_b128 v[2:5], v1, s[6:7]
	global_load_b128 v[6:9], v1, s[6:7] offset:16
	global_load_b128 v[10:13], v1, s[6:7] offset:32
	;; [unrolled: 1-line block ×3, first 2 shown]
	global_load_u8 v28, v0, s[8:9] offset:8
	global_load_b64 v[20:21], v1, s[6:7] offset:64
	s_waitcnt vmcnt(5)
	v_cmp_lt_u64_e32 vcc_lo, v[4:5], v[2:3]
	s_waitcnt vmcnt(4)
	v_cmp_lt_u64_e64 s0, v[8:9], v[6:7]
	s_waitcnt vmcnt(3)
	v_cmp_lt_u64_e64 s1, v[12:13], v[10:11]
	;; [unrolled: 2-line block ×3, first 2 shown]
	v_cndmask_b32_e32 v18, v18, v22, vcc_lo
	s_delay_alu instid0(VALU_DEP_3) | instskip(SKIP_2) | instid1(VALU_DEP_4)
	v_cndmask_b32_e64 v24, v19, v23, s1
	v_cndmask_b32_e64 v23, v7, v9, s0
	;; [unrolled: 1-line block ×3, first 2 shown]
	v_lshrrev_b32_e32 v22, 16, v18
	v_cndmask_b32_e64 v9, v13, v11, s1
	v_perm_b32 v27, v24, v24, 0x6070504
	v_cndmask_b32_e32 v19, v5, v3, vcc_lo
	v_cndmask_b32_e32 v3, v3, v5, vcc_lo
	v_perm_b32 v22, 0, v22, 0xc0c0001
	v_cndmask_b32_e64 v5, v17, v15, s3
	v_cndmask_b32_e64 v27, v24, v27, s3
	s_delay_alu instid0(VALU_DEP_3) | instskip(NEXT) | instid1(VALU_DEP_1)
	v_lshlrev_b32_e32 v22, 16, v22
	v_and_or_b32 v22, 0xffff, v18, v22
	s_delay_alu instid0(VALU_DEP_1)
	v_cndmask_b32_e64 v25, v18, v22, s0
	v_cndmask_b32_e32 v18, v4, v2, vcc_lo
	v_cndmask_b32_e64 v22, v6, v8, s0
	v_cndmask_b32_e64 v6, v8, v6, s0
	v_cndmask_b32_e32 v2, v2, v4, vcc_lo
	v_perm_b32 v26, v25, v25, 0x7050604
	s_delay_alu instid0(VALU_DEP_4) | instskip(NEXT) | instid1(VALU_DEP_1)
	v_cmp_lt_u64_e64 s2, v[22:23], v[18:19]
	v_cndmask_b32_e64 v26, v25, v26, s2
	v_lshlrev_b16 v25, 8, v27
	s_delay_alu instid0(VALU_DEP_2) | instskip(NEXT) | instid1(VALU_DEP_1)
	v_lshrrev_b32_e32 v24, 16, v26
	v_and_b32_e32 v24, 0xff, v24
	s_delay_alu instid0(VALU_DEP_1)
	v_or_b32_e32 v24, v24, v25
	v_cndmask_b32_e64 v25, v11, v13, s1
	v_cndmask_b32_e64 v11, v19, v23, s2
	;; [unrolled: 1-line block ×4, first 2 shown]
	v_lshlrev_b32_e32 v29, 16, v24
	v_cndmask_b32_e64 v24, v10, v12, s1
	s_delay_alu instid0(VALU_DEP_2) | instskip(NEXT) | instid1(VALU_DEP_2)
	v_and_or_b32 v8, 0xffff, v26, v29
	v_cmp_lt_u64_e64 s0, v[24:25], v[6:7]
	s_delay_alu instid0(VALU_DEP_1)
	v_cndmask_b32_e64 v29, v26, v8, s0
	v_cndmask_b32_e64 v8, v12, v10, s1
	v_perm_b32 v12, v26, v27, 0x3020107
	v_cndmask_b32_e64 v10, v18, v22, s2
	v_cndmask_b32_e64 v17, v25, v7, s0
	v_perm_b32 v4, 0, v29, 0xc0c0001
	v_cndmask_b32_e64 v7, v7, v25, s0
	v_cndmask_b32_e64 v27, v27, v12, s0
	v_cmp_lt_u64_e32 vcc_lo, v[10:11], v[2:3]
	v_cndmask_b32_e64 v12, v14, v16, s3
	v_and_or_b32 v26, 0xffff0000, v29, v4
	v_cndmask_b32_e64 v4, v16, v14, s3
	v_perm_b32 v16, v27, v27, 0x7050604
	v_cndmask_b32_e64 v14, v22, v18, s2
	v_cmp_lt_u64_e64 s1, v[12:13], v[8:9]
	v_cndmask_b32_e32 v26, v29, v26, vcc_lo
	s_delay_alu instid0(VALU_DEP_2) | instskip(SKIP_2) | instid1(VALU_DEP_4)
	v_cndmask_b32_e64 v19, v13, v9, s1
	v_cndmask_b32_e64 v9, v9, v13, s1
	v_cndmask_b32_e32 v13, v11, v3, vcc_lo
	v_lshrrev_b32_e32 v18, 16, v26
	v_cndmask_b32_e64 v29, v27, v16, s1
	v_cndmask_b32_e64 v16, v24, v6, s0
	;; [unrolled: 1-line block ×3, first 2 shown]
	s_waitcnt vmcnt(0)
	v_cmp_lt_u64_e64 s0, v[20:21], v[4:5]
	v_perm_b32 v18, 0, v18, 0xc0c0001
	v_perm_b32 v22, v29, v28, 0x60504
	s_delay_alu instid0(VALU_DEP_2) | instskip(SKIP_2) | instid1(VALU_DEP_4)
	v_lshlrev_b32_e32 v23, 16, v18
	v_cndmask_b32_e64 v18, v12, v8, s1
	v_cndmask_b32_e64 v8, v8, v12, s1
	;; [unrolled: 1-line block ×3, first 2 shown]
	v_cmp_lt_u64_e64 s1, v[6:7], v[14:15]
	v_and_or_b32 v23, 0xffff, v26, v23
	v_cndmask_b32_e32 v12, v10, v2, vcc_lo
	v_cmp_lt_u64_e64 s2, v[8:9], v[16:17]
	v_perm_b32 v24, v22, v22, 0x7060405
	v_cndmask_b32_e64 v25, v5, v21, s0
	v_cndmask_b32_e64 v26, v26, v23, s1
	;; [unrolled: 1-line block ×7, first 2 shown]
	v_perm_b32 v30, v26, v26, 0x7050604
	v_cndmask_b32_e64 v6, v6, v14, s1
	v_perm_b32 v31, v27, v27, 0x6070504
	v_cmp_lt_u64_e64 s3, v[22:23], v[12:13]
	v_cmp_lt_u64_e64 s4, v[24:25], v[18:19]
	v_dual_cndmask_b32 v3, v3, v11 :: v_dual_cndmask_b32 v2, v2, v10
	v_perm_b32 v28, v28, s0, 0x3020104
	v_lshrrev_b32_e32 v29, 24, v29
	v_cndmask_b32_e64 v30, v26, v30, s3
	v_cndmask_b32_e64 v31, v27, v31, s4
	;; [unrolled: 1-line block ×5, first 2 shown]
	v_lshrrev_b32_e32 v26, 16, v30
	v_lshlrev_b16 v32, 8, v31
	v_perm_b32 v14, v30, v31, 0x3020107
	v_cndmask_b32_e64 v28, v28, v29, s0
	v_cndmask_b32_e64 v5, v21, v5, s0
	v_and_b32_e32 v33, 0xff, v26
	v_cndmask_b32_e64 v26, v16, v8, s2
	v_cndmask_b32_e64 v8, v8, v16, s2
	;; [unrolled: 1-line block ×3, first 2 shown]
	v_lshlrev_b16 v29, 8, v28
	v_or_b32_e32 v15, v33, v32
	v_cmp_lt_u64_e64 s1, v[26:27], v[6:7]
	v_cndmask_b32_e64 v13, v23, v13, s3
	s_delay_alu instid0(VALU_DEP_3) | instskip(SKIP_1) | instid1(VALU_DEP_4)
	v_lshlrev_b32_e32 v17, 16, v15
	v_cndmask_b32_e64 v15, v19, v25, s4
	v_cndmask_b32_e64 v31, v31, v14, s1
	;; [unrolled: 1-line block ×4, first 2 shown]
	v_and_or_b32 v16, 0xffff, v30, v17
	v_cndmask_b32_e64 v12, v22, v12, s3
	v_perm_b32 v17, v31, v31, 0x7050604
	v_cmp_lt_u64_e64 s2, v[14:15], v[8:9]
	v_cmp_lt_u64_e32 vcc_lo, v[10:11], v[2:3]
	v_cndmask_b32_e64 v16, v30, v16, s1
	s_delay_alu instid0(VALU_DEP_3) | instskip(NEXT) | instid1(VALU_DEP_2)
	v_cndmask_b32_e64 v30, v31, v17, s2
	v_perm_b32 v17, 0, v16, 0xc0c0001
	s_delay_alu instid0(VALU_DEP_2) | instskip(NEXT) | instid1(VALU_DEP_2)
	v_lshrrev_b32_e32 v21, 16, v30
	v_and_or_b32 v17, 0xffff0000, v16, v17
	s_delay_alu instid0(VALU_DEP_2) | instskip(NEXT) | instid1(VALU_DEP_2)
	v_and_b32_e32 v21, 0xff, v21
	v_cndmask_b32_e32 v31, v16, v17, vcc_lo
	v_cndmask_b32_e64 v17, v25, v19, s4
	v_cndmask_b32_e64 v16, v24, v18, s4
	;; [unrolled: 1-line block ×4, first 2 shown]
	v_lshrrev_b32_e32 v20, 16, v31
	s_delay_alu instid0(VALU_DEP_4) | instskip(NEXT) | instid1(VALU_DEP_2)
	v_cmp_lt_u64_e64 s0, v[4:5], v[16:17]
	v_perm_b32 v20, 0, v20, 0xc0c0001
	s_delay_alu instid0(VALU_DEP_2) | instskip(SKIP_1) | instid1(VALU_DEP_3)
	v_cndmask_b32_e64 v25, v17, v5, s0
	v_cndmask_b32_e64 v5, v5, v17, s0
	v_lshlrev_b32_e32 v23, 16, v20
	v_cndmask_b32_e64 v20, v14, v8, s2
	v_cndmask_b32_e64 v8, v8, v14, s2
	v_cndmask_b32_e32 v14, v10, v2, vcc_lo
	v_or_b32_e32 v19, v21, v29
	v_cndmask_b32_e32 v2, v2, v10, vcc_lo
	v_and_or_b32 v23, 0xffff, v31, v23
	s_delay_alu instid0(VALU_DEP_3) | instskip(SKIP_2) | instid1(VALU_DEP_3)
	v_lshlrev_b32_e32 v21, 16, v19
	v_cndmask_b32_e64 v19, v27, v7, s1
	v_cndmask_b32_e64 v7, v7, v27, s1
	v_and_or_b32 v22, 0xffff, v30, v21
	v_cndmask_b32_e64 v21, v15, v9, s2
	v_cndmask_b32_e64 v9, v9, v15, s2
	s_delay_alu instid0(VALU_DEP_4) | instskip(NEXT) | instid1(VALU_DEP_4)
	v_cmp_lt_u64_e64 s1, v[6:7], v[12:13]
	v_cndmask_b32_e64 v22, v30, v22, s0
	v_lshrrev_b32_e32 v30, 24, v30
	s_delay_alu instid0(VALU_DEP_4) | instskip(NEXT) | instid1(VALU_DEP_4)
	v_cmp_lt_u64_e64 s2, v[8:9], v[18:19]
	v_cndmask_b32_e64 v26, v31, v23, s1
	s_delay_alu instid0(VALU_DEP_4)
	v_perm_b32 v24, v22, v22, 0x7060405
	v_cndmask_b32_e64 v23, v13, v7, s1
	v_cndmask_b32_e64 v28, v28, v30, s0
	v_cndmask_b32_e32 v15, v11, v3, vcc_lo
	v_perm_b32 v29, v26, v26, 0x7050604
	v_cndmask_b32_e64 v27, v22, v24, s2
	v_cndmask_b32_e64 v22, v12, v6, s1
	;; [unrolled: 1-line block ×4, first 2 shown]
	v_cndmask_b32_e32 v3, v3, v11, vcc_lo
	v_perm_b32 v31, v27, v27, 0x6070504
	v_cmp_lt_u64_e64 s3, v[22:23], v[14:15]
	v_cmp_lt_u64_e64 s4, v[24:25], v[20:21]
	v_cndmask_b32_e64 v7, v7, v13, s1
	v_cndmask_b32_e64 v6, v6, v12, s1
	s_delay_alu instid0(VALU_DEP_4) | instskip(NEXT) | instid1(VALU_DEP_4)
	v_cndmask_b32_e64 v29, v26, v29, s3
	v_cndmask_b32_e64 v11, v27, v31, s4
	;; [unrolled: 1-line block ×5, first 2 shown]
	v_lshrrev_b32_e32 v31, 16, v29
	v_lshlrev_b16 v13, 8, v11
	v_perm_b32 v12, v29, v11, 0x3020107
	v_cmp_lt_u64_e32 vcc_lo, v[26:27], v[6:7]
	v_cndmask_b32_e64 v8, v8, v18, s2
	v_and_b32_e32 v31, 0xff, v31
	v_cndmask_b32_e64 v17, v23, v15, s3
	v_cndmask_b32_e64 v16, v22, v14, s3
	;; [unrolled: 1-line block ×3, first 2 shown]
	v_cndmask_b32_e32 v12, v11, v12, vcc_lo
	v_or_b32_e32 v10, v31, v13
	v_cndmask_b32_e64 v11, v21, v25, s4
	v_cndmask_b32_e64 v14, v14, v22, s3
	s_delay_alu instid0(VALU_DEP_4) | instskip(NEXT) | instid1(VALU_DEP_4)
	v_perm_b32 v18, v12, v12, 0x7050604
	v_lshlrev_b32_e32 v13, 16, v10
	v_cndmask_b32_e64 v10, v20, v24, s4
	s_delay_alu instid0(VALU_DEP_4) | instskip(NEXT) | instid1(VALU_DEP_3)
	v_cmp_lt_u64_e64 s0, v[14:15], v[2:3]
	v_and_or_b32 v13, 0xffff, v29, v13
	s_delay_alu instid0(VALU_DEP_3) | instskip(NEXT) | instid1(VALU_DEP_2)
	v_cmp_lt_u64_e64 s1, v[10:11], v[8:9]
	v_cndmask_b32_e32 v29, v29, v13, vcc_lo
	v_cndmask_b32_e64 v13, v25, v21, s4
	s_delay_alu instid0(VALU_DEP_3) | instskip(SKIP_3) | instid1(VALU_DEP_4)
	v_cndmask_b32_e64 v30, v12, v18, s1
	v_cndmask_b32_e64 v12, v24, v20, s4
	v_lshlrev_b16 v18, 8, v28
	v_perm_b32 v20, 0, v29, 0xc0c0001
	v_lshrrev_b32_e32 v19, 16, v30
	s_delay_alu instid0(VALU_DEP_2) | instskip(NEXT) | instid1(VALU_DEP_2)
	v_and_or_b32 v20, 0xffff0000, v29, v20
	v_and_b32_e32 v21, 0xff, v19
	v_cndmask_b32_e32 v19, v27, v7, vcc_lo
	v_cndmask_b32_e32 v7, v7, v27, vcc_lo
	s_delay_alu instid0(VALU_DEP_4)
	v_cndmask_b32_e64 v22, v29, v20, s0
	v_cndmask_b32_e64 v20, v10, v8, s1
	v_or_b32_e32 v21, v21, v18
	v_cndmask_b32_e32 v18, v26, v6, vcc_lo
	v_cndmask_b32_e32 v6, v6, v26, vcc_lo
	v_lshrrev_b32_e32 v24, 16, v22
	v_cmp_lt_u64_e32 vcc_lo, v[4:5], v[12:13]
	v_lshlrev_b32_e32 v23, 16, v21
	v_cndmask_b32_e64 v8, v8, v10, s1
	v_cndmask_b32_e64 v21, v11, v9, s1
	v_perm_b32 v10, 0, v24, 0xc0c0001
	v_cndmask_b32_e64 v9, v9, v11, s1
	v_and_or_b32 v23, 0xffff, v30, v23
	v_cndmask_b32_e64 v11, v15, v3, s0
	v_cndmask_b32_e64 v3, v3, v15, s0
	v_lshlrev_b32_e32 v25, 16, v10
	v_cndmask_b32_e64 v10, v14, v2, s0
	v_cndmask_b32_e32 v23, v30, v23, vcc_lo
	v_cndmask_b32_e64 v2, v2, v14, s0
	v_cmp_lt_u64_e64 s0, v[8:9], v[18:19]
	v_cmp_lt_u64_e64 s1, v[6:7], v[16:17]
	v_lshrrev_b32_e32 v24, 24, v30
	v_perm_b32 v26, v23, v23, 0x7060405
	v_and_or_b32 v14, 0xffff, v22, v25
	s_delay_alu instid0(VALU_DEP_2) | instskip(NEXT) | instid1(VALU_DEP_4)
	v_cndmask_b32_e64 v25, v23, v26, s0
	v_cndmask_b32_e32 v26, v28, v24, vcc_lo
	s_delay_alu instid0(VALU_DEP_3)
	v_cndmask_b32_e64 v24, v22, v14, s1
	v_cndmask_b32_e32 v14, v12, v4, vcc_lo
	v_cndmask_b32_e64 v23, v17, v7, s1
	v_cndmask_b32_e64 v22, v16, v6, s1
	v_dual_cndmask_b32 v12, v4, v12 :: v_dual_cndmask_b32 v15, v13, v5
	v_perm_b32 v27, v25, v25, 0x6070504
	v_perm_b32 v28, v24, v24, 0x7050604
	s_delay_alu instid0(VALU_DEP_4)
	v_cmp_lt_u64_e64 s3, v[22:23], v[10:11]
	v_cndmask_b32_e32 v13, v5, v13, vcc_lo
	v_cmp_lt_u64_e64 s2, v[14:15], v[20:21]
	v_cndmask_b32_e64 v7, v7, v17, s1
	v_cndmask_b32_e64 v6, v6, v16, s1
	v_lshlrev_b16 v4, 8, v26
	s_delay_alu instid0(VALU_DEP_4) | instskip(SKIP_3) | instid1(VALU_DEP_3)
	v_cndmask_b32_e64 v5, v25, v27, s2
	v_cndmask_b32_e64 v27, v24, v28, s3
	;; [unrolled: 1-line block ×4, first 2 shown]
	v_lshrrev_b32_e32 v17, 16, v27
	v_perm_b32 v16, v27, v5, 0x3020107
	s_delay_alu instid0(VALU_DEP_2)
	v_and_b32_e32 v28, 0xff, v17
	v_cndmask_b32_e64 v25, v19, v9, s0
	v_cndmask_b32_e64 v9, v9, v19, s0
	v_lshlrev_b16 v19, 8, v5
	v_cndmask_b32_e64 v17, v21, v15, s2
	v_cndmask_b32_e64 v15, v15, v21, s2
	v_cmp_lt_u64_e64 s1, v[24:25], v[6:7]
	s_delay_alu instid0(VALU_DEP_4) | instskip(NEXT) | instid1(VALU_DEP_2)
	v_or_b32_e32 v19, v28, v19
	v_cndmask_b32_e64 v5, v5, v16, s1
	v_cndmask_b32_e64 v16, v20, v14, s2
	v_cndmask_b32_e64 v14, v14, v20, s2
	v_cndmask_b32_e64 v21, v25, v7, s1
	s_delay_alu instid0(VALU_DEP_4) | instskip(NEXT) | instid1(VALU_DEP_4)
	v_perm_b32 v18, v5, v5, 0x7050604
	v_cmp_lt_u64_e32 vcc_lo, v[16:17], v[8:9]
	s_delay_alu instid0(VALU_DEP_2) | instskip(SKIP_2) | instid1(VALU_DEP_3)
	v_cndmask_b32_e32 v28, v5, v18, vcc_lo
	v_cndmask_b32_e64 v18, v22, v10, s3
	v_cndmask_b32_e64 v10, v10, v22, s3
	v_lshrrev_b32_e32 v20, 16, v28
	s_delay_alu instid0(VALU_DEP_1) | instskip(SKIP_1) | instid1(VALU_DEP_2)
	v_and_b32_e32 v22, 0xff, v20
	v_cndmask_b32_e64 v20, v24, v6, s1
	v_or_b32_e32 v4, v22, v4
	v_cndmask_b32_e64 v22, v6, v24, s1
	v_lshlrev_b32_e32 v5, 16, v19
	v_cndmask_b32_e64 v19, v23, v11, s3
	v_cndmask_b32_e64 v11, v11, v23, s3
	;; [unrolled: 1-line block ×3, first 2 shown]
	v_lshlrev_b32_e32 v4, 16, v4
	v_and_or_b32 v5, 0xffff, v27, v5
	v_cndmask_b32_e32 v25, v17, v9, vcc_lo
	v_cmp_lt_u64_e64 s0, v[10:11], v[2:3]
	v_cndmask_b32_e32 v24, v16, v8, vcc_lo
	v_cndmask_b32_e32 v6, v8, v16, vcc_lo
	v_cndmask_b32_e64 v5, v27, v5, s1
	v_lshrrev_b32_e32 v8, 24, v28
	s_delay_alu instid0(VALU_DEP_2) | instskip(NEXT) | instid1(VALU_DEP_1)
	v_perm_b32 v7, 0, v5, 0xc0c0001
	v_and_or_b32 v27, 0xffff0000, v5, v7
	v_cndmask_b32_e32 v7, v9, v17, vcc_lo
	v_cmp_lt_u64_e32 vcc_lo, v[12:13], v[14:15]
	v_and_or_b32 v9, 0xffff, v28, v4
	v_cndmask_b32_e64 v4, v10, v2, s0
	v_cndmask_b32_e64 v16, v5, v27, s0
	;; [unrolled: 1-line block ×4, first 2 shown]
	v_cndmask_b32_e32 v9, v28, v9, vcc_lo
	v_cndmask_b32_e64 v2, v2, v10, s0
	v_lshrrev_b32_e32 v11, 16, v16
	v_cmp_lt_u64_e64 s0, v[6:7], v[20:21]
	v_cndmask_b32_e32 v28, v26, v8, vcc_lo
	v_perm_b32 v10, v9, v9, 0x7060405
	v_cndmask_b32_e32 v27, v13, v15, vcc_lo
	v_perm_b32 v8, 0, v11, 0xc0c0001
	v_dual_cndmask_b32 v26, v12, v14 :: v_dual_cndmask_b32 v15, v15, v13
	v_cndmask_b32_e32 v14, v14, v12, vcc_lo
	v_cndmask_b32_e64 v10, v9, v10, s0
	s_delay_alu instid0(VALU_DEP_4)
	v_lshlrev_b32_e32 v11, 16, v8
	v_cndmask_b32_e64 v9, v7, v21, s0
	v_cndmask_b32_e64 v8, v6, v20, s0
	v_cmp_lt_u64_e32 vcc_lo, v[22:23], v[18:19]
	v_cndmask_b32_e64 v7, v21, v7, s0
	v_cndmask_b32_e64 v6, v20, v6, s0
	v_cmp_lt_u64_e64 s0, v[14:15], v[24:25]
	v_and_or_b32 v11, 0xffff, v16, v11
	v_perm_b32 v12, v10, v10, 0x6070504
	v_cndmask_b32_e32 v13, v23, v19, vcc_lo
	s_delay_alu instid0(VALU_DEP_3) | instskip(NEXT) | instid1(VALU_DEP_3)
	v_cndmask_b32_e32 v20, v16, v11, vcc_lo
	v_cndmask_b32_e64 v21, v10, v12, s0
	v_cndmask_b32_e32 v10, v18, v22, vcc_lo
	v_dual_cndmask_b32 v12, v22, v18 :: v_dual_cndmask_b32 v11, v19, v23
	v_cndmask_b32_e64 v17, v15, v25, s0
	v_cndmask_b32_e64 v16, v14, v24, s0
	;; [unrolled: 1-line block ×4, first 2 shown]
	s_clause 0x4
	global_store_b64 v1, v[26:27], s[6:7] offset:64
	global_store_b128 v1, v[2:5], s[6:7]
	global_store_b128 v1, v[10:13], s[6:7] offset:16
	global_store_b128 v1, v[6:9], s[6:7] offset:32
	;; [unrolled: 1-line block ×3, first 2 shown]
	s_clause 0x1
	global_store_b8 v0, v28, s[8:9] offset:8
	global_store_b64 v0, v[20:21], s[8:9]
	s_nop 0
	s_sendmsg sendmsg(MSG_DEALLOC_VGPRS)
	s_endpgm
	.section	.rodata,"a",@progbits
	.p2align	6, 0x0
	.amdhsa_kernel _Z16sort_keys_valuesILj256ELj9EycN10test_utils4lessEEvPT1_PT2_T3_
		.amdhsa_group_segment_fixed_size 0
		.amdhsa_private_segment_fixed_size 0
		.amdhsa_kernarg_size 20
		.amdhsa_user_sgpr_count 15
		.amdhsa_user_sgpr_dispatch_ptr 0
		.amdhsa_user_sgpr_queue_ptr 0
		.amdhsa_user_sgpr_kernarg_segment_ptr 1
		.amdhsa_user_sgpr_dispatch_id 0
		.amdhsa_user_sgpr_private_segment_size 0
		.amdhsa_wavefront_size32 1
		.amdhsa_uses_dynamic_stack 0
		.amdhsa_enable_private_segment 0
		.amdhsa_system_sgpr_workgroup_id_x 1
		.amdhsa_system_sgpr_workgroup_id_y 0
		.amdhsa_system_sgpr_workgroup_id_z 0
		.amdhsa_system_sgpr_workgroup_info 0
		.amdhsa_system_vgpr_workitem_id 0
		.amdhsa_next_free_vgpr 34
		.amdhsa_next_free_sgpr 16
		.amdhsa_reserve_vcc 1
		.amdhsa_float_round_mode_32 0
		.amdhsa_float_round_mode_16_64 0
		.amdhsa_float_denorm_mode_32 3
		.amdhsa_float_denorm_mode_16_64 3
		.amdhsa_dx10_clamp 1
		.amdhsa_ieee_mode 1
		.amdhsa_fp16_overflow 0
		.amdhsa_workgroup_processor_mode 1
		.amdhsa_memory_ordered 1
		.amdhsa_forward_progress 0
		.amdhsa_shared_vgpr_count 0
		.amdhsa_exception_fp_ieee_invalid_op 0
		.amdhsa_exception_fp_denorm_src 0
		.amdhsa_exception_fp_ieee_div_zero 0
		.amdhsa_exception_fp_ieee_overflow 0
		.amdhsa_exception_fp_ieee_underflow 0
		.amdhsa_exception_fp_ieee_inexact 0
		.amdhsa_exception_int_div_zero 0
	.end_amdhsa_kernel
	.section	.text._Z16sort_keys_valuesILj256ELj9EycN10test_utils4lessEEvPT1_PT2_T3_,"axG",@progbits,_Z16sort_keys_valuesILj256ELj9EycN10test_utils4lessEEvPT1_PT2_T3_,comdat
.Lfunc_end20:
	.size	_Z16sort_keys_valuesILj256ELj9EycN10test_utils4lessEEvPT1_PT2_T3_, .Lfunc_end20-_Z16sort_keys_valuesILj256ELj9EycN10test_utils4lessEEvPT1_PT2_T3_
                                        ; -- End function
	.section	.AMDGPU.csdata,"",@progbits
; Kernel info:
; codeLenInByte = 2816
; NumSgprs: 18
; NumVgprs: 34
; ScratchSize: 0
; MemoryBound: 0
; FloatMode: 240
; IeeeMode: 1
; LDSByteSize: 0 bytes/workgroup (compile time only)
; SGPRBlocks: 2
; VGPRBlocks: 4
; NumSGPRsForWavesPerEU: 18
; NumVGPRsForWavesPerEU: 34
; Occupancy: 16
; WaveLimiterHint : 0
; COMPUTE_PGM_RSRC2:SCRATCH_EN: 0
; COMPUTE_PGM_RSRC2:USER_SGPR: 15
; COMPUTE_PGM_RSRC2:TRAP_HANDLER: 0
; COMPUTE_PGM_RSRC2:TGID_X_EN: 1
; COMPUTE_PGM_RSRC2:TGID_Y_EN: 0
; COMPUTE_PGM_RSRC2:TGID_Z_EN: 0
; COMPUTE_PGM_RSRC2:TIDIG_COMP_CNT: 0
	.section	.text._Z16sort_keys_valuesILj256ELj8EtcN10test_utils4lessEEvPT1_PT2_T3_,"axG",@progbits,_Z16sort_keys_valuesILj256ELj8EtcN10test_utils4lessEEvPT1_PT2_T3_,comdat
	.protected	_Z16sort_keys_valuesILj256ELj8EtcN10test_utils4lessEEvPT1_PT2_T3_ ; -- Begin function _Z16sort_keys_valuesILj256ELj8EtcN10test_utils4lessEEvPT1_PT2_T3_
	.globl	_Z16sort_keys_valuesILj256ELj8EtcN10test_utils4lessEEvPT1_PT2_T3_
	.p2align	8
	.type	_Z16sort_keys_valuesILj256ELj8EtcN10test_utils4lessEEvPT1_PT2_T3_,@function
_Z16sort_keys_valuesILj256ELj8EtcN10test_utils4lessEEvPT1_PT2_T3_: ; @_Z16sort_keys_valuesILj256ELj8EtcN10test_utils4lessEEvPT1_PT2_T3_
; %bb.0:
	s_load_b128 s[4:7], s[0:1], 0x0
	s_mov_b32 s1, 0
	s_lshl_b32 s0, s15, 11
	v_lshlrev_b32_e32 v7, 4, v0
	s_lshl_b64 s[2:3], s[0:1], 1
	v_lshlrev_b32_e32 v6, 3, v0
	s_waitcnt lgkmcnt(0)
	s_add_u32 s2, s4, s2
	s_addc_u32 s3, s5, s3
	s_add_u32 s4, s6, s0
	s_addc_u32 s5, s7, 0
	global_load_b128 v[0:3], v7, s[2:3]
	global_load_b64 v[4:5], v6, s[4:5]
	s_waitcnt vmcnt(1)
	v_lshrrev_b32_e32 v8, 16, v0
	s_waitcnt vmcnt(0)
	v_perm_b32 v9, v4, v4, 0x3020405
	v_lshrrev_b32_e32 v10, 16, v1
	v_alignbit_b32 v11, v1, v1, 16
	v_lshrrev_b32_e32 v12, 16, v2
	v_cmp_lt_u16_e32 vcc_lo, v8, v0
	v_perm_b32 v13, v5, v5, 0x7060405
	s_delay_alu instid0(VALU_DEP_3) | instskip(SKIP_2) | instid1(VALU_DEP_3)
	v_cmp_lt_u16_e64 s0, v12, v2
	v_cndmask_b32_e32 v4, v4, v9, vcc_lo
	v_alignbit_b32 v9, v0, v0, 16
	v_cndmask_b32_e64 v5, v5, v13, s0
	s_delay_alu instid0(VALU_DEP_3) | instskip(NEXT) | instid1(VALU_DEP_3)
	v_lshrrev_b32_e32 v8, 16, v4
	v_cndmask_b32_e32 v0, v0, v9, vcc_lo
	v_cmp_lt_u16_e32 vcc_lo, v10, v1
	v_lshrrev_b32_e32 v10, 16, v3
	s_delay_alu instid0(VALU_DEP_4) | instskip(SKIP_2) | instid1(VALU_DEP_4)
	v_perm_b32 v8, 0, v8, 0xc0c0001
	v_cndmask_b32_e32 v1, v1, v11, vcc_lo
	v_perm_b32 v11, v5, v5, 0x6070504
	v_cmp_lt_u16_e64 s1, v10, v3
	s_delay_alu instid0(VALU_DEP_4) | instskip(NEXT) | instid1(VALU_DEP_4)
	v_lshlrev_b32_e32 v8, 16, v8
	v_perm_b32 v10, v1, v0, 0x7060302
	s_delay_alu instid0(VALU_DEP_3) | instskip(NEXT) | instid1(VALU_DEP_3)
	v_cndmask_b32_e64 v5, v5, v11, s1
	v_and_or_b32 v8, 0xffff, v4, v8
	s_delay_alu instid0(VALU_DEP_1) | instskip(SKIP_1) | instid1(VALU_DEP_2)
	v_cndmask_b32_e32 v4, v4, v8, vcc_lo
	v_lshrrev_b32_e32 v8, 16, v0
	v_perm_b32 v9, v4, v4, 0x7050604
	s_delay_alu instid0(VALU_DEP_2) | instskip(NEXT) | instid1(VALU_DEP_2)
	v_cmp_lt_u16_e32 vcc_lo, v1, v8
	v_cndmask_b32_e32 v4, v4, v9, vcc_lo
	v_lshlrev_b16 v9, 8, v5
	v_cndmask_b32_e32 v10, v1, v10, vcc_lo
	v_perm_b32 v1, v1, v0, 0x5040100
	s_delay_alu instid0(VALU_DEP_4) | instskip(NEXT) | instid1(VALU_DEP_2)
	v_lshrrev_b32_e32 v8, 16, v4
	v_cndmask_b32_e32 v0, v0, v1, vcc_lo
	s_delay_alu instid0(VALU_DEP_2) | instskip(NEXT) | instid1(VALU_DEP_2)
	v_and_b32_e32 v8, 0xff, v8
	v_lshrrev_b32_e32 v11, 16, v0
	s_delay_alu instid0(VALU_DEP_2) | instskip(SKIP_1) | instid1(VALU_DEP_3)
	v_or_b32_e32 v8, v8, v9
	v_alignbit_b32 v9, v2, v2, 16
	v_cmp_lt_u16_e32 vcc_lo, v11, v0
	s_delay_alu instid0(VALU_DEP_3) | instskip(NEXT) | instid1(VALU_DEP_3)
	v_lshlrev_b32_e32 v8, 16, v8
	v_cndmask_b32_e64 v2, v2, v9, s0
	v_lshrrev_b32_e32 v9, 16, v10
	s_delay_alu instid0(VALU_DEP_3) | instskip(NEXT) | instid1(VALU_DEP_2)
	v_and_or_b32 v8, 0xffff, v4, v8
	v_cmp_lt_u16_e64 s0, v2, v9
	v_alignbit_b32 v9, v3, v3, 16
	s_delay_alu instid0(VALU_DEP_2) | instskip(SKIP_1) | instid1(VALU_DEP_3)
	v_cndmask_b32_e64 v8, v4, v8, s0
	v_perm_b32 v4, v4, v5, 0x3020107
	v_cndmask_b32_e64 v3, v3, v9, s1
	v_alignbit_b32 v9, v0, v0, 16
	s_delay_alu instid0(VALU_DEP_4) | instskip(NEXT) | instid1(VALU_DEP_4)
	v_perm_b32 v1, 0, v8, 0xc0c0001
	v_cndmask_b32_e64 v4, v5, v4, s0
	s_delay_alu instid0(VALU_DEP_3) | instskip(NEXT) | instid1(VALU_DEP_3)
	v_cndmask_b32_e32 v0, v0, v9, vcc_lo
	v_and_or_b32 v1, 0xffff0000, v8, v1
	s_delay_alu instid0(VALU_DEP_1) | instskip(SKIP_1) | instid1(VALU_DEP_2)
	v_cndmask_b32_e32 v1, v8, v1, vcc_lo
	v_perm_b32 v12, v2, v10, 0x7060302
	v_lshrrev_b32_e32 v11, 16, v1
	s_delay_alu instid0(VALU_DEP_2) | instskip(SKIP_2) | instid1(VALU_DEP_4)
	v_cndmask_b32_e64 v8, v2, v12, s0
	v_perm_b32 v2, v2, v10, 0x5040100
	v_perm_b32 v12, v4, v4, 0x7050604
	;; [unrolled: 1-line block ×3, first 2 shown]
	s_delay_alu instid0(VALU_DEP_4) | instskip(NEXT) | instid1(VALU_DEP_4)
	v_lshrrev_b32_e32 v5, 16, v8
	v_cndmask_b32_e64 v2, v10, v2, s0
	v_perm_b32 v10, v3, v8, 0x5040100
	s_delay_alu instid0(VALU_DEP_4) | instskip(NEXT) | instid1(VALU_DEP_4)
	v_lshlrev_b32_e32 v11, 16, v11
	v_cmp_lt_u16_e64 s0, v3, v5
	v_perm_b32 v5, v3, v8, 0x7060302
	v_lshrrev_b32_e32 v13, 16, v2
	s_delay_alu instid0(VALU_DEP_3)
	v_cndmask_b32_e64 v8, v8, v10, s0
	v_cndmask_b32_e64 v4, v4, v12, s0
	v_alignbit_b32 v10, v2, v2, 16
	v_cndmask_b32_e64 v3, v3, v5, s0
	v_and_or_b32 v5, 0xffff, v1, v11
	v_lshrrev_b32_e32 v9, 16, v8
	v_cmp_lt_u16_e32 vcc_lo, v13, v2
	v_perm_b32 v11, v4, v4, 0x7060405
	s_delay_alu instid0(VALU_DEP_3)
	v_cmp_lt_u16_e64 s0, v9, v8
	v_cndmask_b32_e32 v1, v1, v5, vcc_lo
	v_lshrrev_b32_e32 v5, 16, v0
	v_cndmask_b32_e32 v2, v2, v10, vcc_lo
	v_lshrrev_b32_e32 v10, 16, v3
	v_cndmask_b32_e64 v4, v4, v11, s0
	v_perm_b32 v9, v1, v1, 0x7050604
	s_delay_alu instid0(VALU_DEP_4) | instskip(NEXT) | instid1(VALU_DEP_4)
	v_cmp_lt_u16_e32 vcc_lo, v2, v5
	v_cmp_lt_u16_e64 s1, v10, v3
	s_delay_alu instid0(VALU_DEP_4) | instskip(NEXT) | instid1(VALU_DEP_4)
	v_perm_b32 v11, v4, v4, 0x6070504
	v_cndmask_b32_e32 v1, v1, v9, vcc_lo
	s_delay_alu instid0(VALU_DEP_2) | instskip(NEXT) | instid1(VALU_DEP_2)
	v_cndmask_b32_e64 v4, v4, v11, s1
	v_lshrrev_b32_e32 v5, 16, v1
	s_delay_alu instid0(VALU_DEP_2) | instskip(NEXT) | instid1(VALU_DEP_2)
	v_lshlrev_b16 v9, 8, v4
	v_and_b32_e32 v5, 0xff, v5
	v_perm_b32 v10, v2, v0, 0x7060302
	s_delay_alu instid0(VALU_DEP_2) | instskip(SKIP_1) | instid1(VALU_DEP_3)
	v_or_b32_e32 v5, v5, v9
	v_alignbit_b32 v9, v8, v8, 16
	v_cndmask_b32_e32 v10, v2, v10, vcc_lo
	v_perm_b32 v2, v2, v0, 0x5040100
	s_delay_alu instid0(VALU_DEP_4) | instskip(NEXT) | instid1(VALU_DEP_4)
	v_lshlrev_b32_e32 v5, 16, v5
	v_cndmask_b32_e64 v8, v8, v9, s0
	s_delay_alu instid0(VALU_DEP_4) | instskip(NEXT) | instid1(VALU_DEP_4)
	v_lshrrev_b32_e32 v9, 16, v10
	v_cndmask_b32_e32 v0, v0, v2, vcc_lo
	s_delay_alu instid0(VALU_DEP_4) | instskip(NEXT) | instid1(VALU_DEP_4)
	v_and_or_b32 v5, 0xffff, v1, v5
	v_perm_b32 v12, v8, v10, 0x7060302
	s_delay_alu instid0(VALU_DEP_4) | instskip(NEXT) | instid1(VALU_DEP_4)
	v_cmp_lt_u16_e64 s0, v8, v9
	v_lshrrev_b32_e32 v11, 16, v0
	v_alignbit_b32 v9, v3, v3, 16
	s_delay_alu instid0(VALU_DEP_3) | instskip(NEXT) | instid1(VALU_DEP_3)
	v_cndmask_b32_e64 v5, v1, v5, s0
	v_cmp_lt_u16_e32 vcc_lo, v11, v0
	v_perm_b32 v1, v1, v4, 0x3020107
	s_delay_alu instid0(VALU_DEP_4) | instskip(SKIP_2) | instid1(VALU_DEP_4)
	v_cndmask_b32_e64 v3, v3, v9, s1
	v_alignbit_b32 v9, v0, v0, 16
	v_perm_b32 v2, 0, v5, 0xc0c0001
	v_cndmask_b32_e64 v1, v4, v1, s0
	s_delay_alu instid0(VALU_DEP_3) | instskip(NEXT) | instid1(VALU_DEP_3)
	v_cndmask_b32_e32 v0, v0, v9, vcc_lo
	v_and_or_b32 v2, 0xffff0000, v5, v2
	s_delay_alu instid0(VALU_DEP_1) | instskip(SKIP_3) | instid1(VALU_DEP_4)
	v_cndmask_b32_e32 v2, v5, v2, vcc_lo
	v_cndmask_b32_e64 v5, v8, v12, s0
	v_perm_b32 v8, v8, v10, 0x5040100
	v_perm_b32 v12, v1, v1, 0x7050604
	v_lshrrev_b32_e32 v11, 16, v2
	s_delay_alu instid0(VALU_DEP_4) | instskip(NEXT) | instid1(VALU_DEP_4)
	v_lshrrev_b32_e32 v4, 16, v5
	v_cndmask_b32_e64 v8, v10, v8, s0
	v_perm_b32 v10, v3, v5, 0x5040100
	s_delay_alu instid0(VALU_DEP_4) | instskip(NEXT) | instid1(VALU_DEP_4)
	v_perm_b32 v11, 0, v11, 0xc0c0001
	v_cmp_lt_u16_e64 s0, v3, v4
	v_perm_b32 v4, v3, v5, 0x7060302
	v_lshrrev_b32_e32 v13, 16, v8
	s_delay_alu instid0(VALU_DEP_4) | instskip(NEXT) | instid1(VALU_DEP_4)
	v_lshlrev_b32_e32 v11, 16, v11
	v_cndmask_b32_e64 v5, v5, v10, s0
	v_cndmask_b32_e64 v1, v1, v12, s0
	v_alignbit_b32 v10, v8, v8, 16
	v_cndmask_b32_e64 v3, v3, v4, s0
	v_and_or_b32 v4, 0xffff, v2, v11
	v_lshrrev_b32_e32 v9, 16, v5
	v_cmp_lt_u16_e32 vcc_lo, v13, v8
	v_perm_b32 v11, v1, v1, 0x7060405
	s_delay_alu instid0(VALU_DEP_3)
	v_cmp_lt_u16_e64 s0, v9, v5
	v_cndmask_b32_e32 v2, v2, v4, vcc_lo
	v_lshrrev_b32_e32 v4, 16, v0
	v_cndmask_b32_e32 v8, v8, v10, vcc_lo
	v_lshrrev_b32_e32 v10, 16, v3
	v_cndmask_b32_e64 v1, v1, v11, s0
	v_perm_b32 v9, v2, v2, 0x7050604
	s_delay_alu instid0(VALU_DEP_4) | instskip(NEXT) | instid1(VALU_DEP_4)
	v_cmp_lt_u16_e32 vcc_lo, v8, v4
	v_cmp_lt_u16_e64 s1, v10, v3
	s_delay_alu instid0(VALU_DEP_4) | instskip(SKIP_2) | instid1(VALU_DEP_3)
	v_perm_b32 v11, v1, v1, 0x6070504
	v_perm_b32 v10, v8, v0, 0x7060302
	v_cndmask_b32_e32 v2, v2, v9, vcc_lo
	v_cndmask_b32_e64 v1, v1, v11, s1
	s_delay_alu instid0(VALU_DEP_3) | instskip(SKIP_1) | instid1(VALU_DEP_4)
	v_cndmask_b32_e32 v10, v8, v10, vcc_lo
	v_perm_b32 v8, v8, v0, 0x5040100
	v_lshrrev_b32_e32 v4, 16, v2
	s_delay_alu instid0(VALU_DEP_4) | instskip(NEXT) | instid1(VALU_DEP_3)
	v_lshlrev_b16 v9, 8, v1
	v_cndmask_b32_e32 v0, v0, v8, vcc_lo
	s_delay_alu instid0(VALU_DEP_3) | instskip(NEXT) | instid1(VALU_DEP_2)
	v_and_b32_e32 v4, 0xff, v4
	v_lshrrev_b32_e32 v11, 16, v0
	s_delay_alu instid0(VALU_DEP_2) | instskip(SKIP_1) | instid1(VALU_DEP_3)
	v_or_b32_e32 v4, v4, v9
	v_alignbit_b32 v9, v5, v5, 16
	v_cmp_lt_u16_e32 vcc_lo, v11, v0
	s_delay_alu instid0(VALU_DEP_3) | instskip(NEXT) | instid1(VALU_DEP_3)
	v_lshlrev_b32_e32 v4, 16, v4
	v_cndmask_b32_e64 v5, v5, v9, s0
	v_lshrrev_b32_e32 v9, 16, v10
	s_delay_alu instid0(VALU_DEP_3) | instskip(NEXT) | instid1(VALU_DEP_3)
	v_and_or_b32 v4, 0xffff, v2, v4
	v_perm_b32 v12, v5, v10, 0x7060302
	s_delay_alu instid0(VALU_DEP_3) | instskip(SKIP_1) | instid1(VALU_DEP_2)
	v_cmp_lt_u16_e64 s0, v5, v9
	v_alignbit_b32 v9, v3, v3, 16
	v_cndmask_b32_e64 v4, v2, v4, s0
	v_perm_b32 v2, v2, v1, 0x3020107
	s_delay_alu instid0(VALU_DEP_3) | instskip(SKIP_1) | instid1(VALU_DEP_4)
	v_cndmask_b32_e64 v3, v3, v9, s1
	v_alignbit_b32 v9, v0, v0, 16
	v_perm_b32 v8, 0, v4, 0xc0c0001
	s_delay_alu instid0(VALU_DEP_4) | instskip(NEXT) | instid1(VALU_DEP_3)
	v_cndmask_b32_e64 v1, v1, v2, s0
	v_cndmask_b32_e32 v0, v0, v9, vcc_lo
	s_delay_alu instid0(VALU_DEP_3) | instskip(NEXT) | instid1(VALU_DEP_1)
	v_and_or_b32 v8, 0xffff0000, v4, v8
	v_cndmask_b32_e32 v4, v4, v8, vcc_lo
	v_cndmask_b32_e64 v8, v5, v12, s0
	v_perm_b32 v5, v5, v10, 0x5040100
	v_perm_b32 v12, v1, v1, 0x7050604
	s_delay_alu instid0(VALU_DEP_4) | instskip(NEXT) | instid1(VALU_DEP_4)
	v_lshrrev_b32_e32 v11, 16, v4
	v_lshrrev_b32_e32 v2, 16, v8
	s_delay_alu instid0(VALU_DEP_4) | instskip(SKIP_1) | instid1(VALU_DEP_4)
	v_cndmask_b32_e64 v5, v10, v5, s0
	v_perm_b32 v10, v3, v8, 0x5040100
	v_perm_b32 v11, 0, v11, 0xc0c0001
	s_delay_alu instid0(VALU_DEP_4) | instskip(SKIP_2) | instid1(VALU_DEP_4)
	v_cmp_lt_u16_e64 s0, v3, v2
	v_perm_b32 v2, v3, v8, 0x7060302
	v_lshrrev_b32_e32 v13, 16, v5
	v_lshlrev_b32_e32 v11, 16, v11
	s_delay_alu instid0(VALU_DEP_4)
	v_cndmask_b32_e64 v8, v8, v10, s0
	v_cndmask_b32_e64 v1, v1, v12, s0
	v_alignbit_b32 v10, v5, v5, 16
	v_cndmask_b32_e64 v2, v3, v2, s0
	v_and_or_b32 v3, 0xffff, v4, v11
	v_lshrrev_b32_e32 v9, 16, v8
	v_cmp_lt_u16_e32 vcc_lo, v13, v5
	v_perm_b32 v11, v1, v1, 0x7060405
	s_delay_alu instid0(VALU_DEP_3)
	v_cmp_lt_u16_e64 s0, v9, v8
	v_cndmask_b32_e32 v3, v4, v3, vcc_lo
	v_lshrrev_b32_e32 v4, 16, v0
	v_cndmask_b32_e32 v5, v5, v10, vcc_lo
	v_lshrrev_b32_e32 v10, 16, v2
	v_cndmask_b32_e64 v1, v1, v11, s0
	v_perm_b32 v9, v3, v3, 0x7050604
	s_delay_alu instid0(VALU_DEP_4) | instskip(NEXT) | instid1(VALU_DEP_4)
	v_cmp_lt_u16_e32 vcc_lo, v5, v4
	v_cmp_lt_u16_e64 s1, v10, v2
	s_delay_alu instid0(VALU_DEP_4) | instskip(SKIP_2) | instid1(VALU_DEP_3)
	v_perm_b32 v11, v1, v1, 0x6070504
	v_perm_b32 v10, v5, v0, 0x7060302
	v_cndmask_b32_e32 v3, v3, v9, vcc_lo
	v_cndmask_b32_e64 v1, v1, v11, s1
	v_alignbit_b32 v11, v8, v8, 16
	s_delay_alu instid0(VALU_DEP_3) | instskip(NEXT) | instid1(VALU_DEP_3)
	v_lshrrev_b32_e32 v4, 16, v3
	v_lshlrev_b16 v9, 8, v1
	s_delay_alu instid0(VALU_DEP_3) | instskip(SKIP_1) | instid1(VALU_DEP_4)
	v_cndmask_b32_e64 v8, v8, v11, s0
	v_perm_b32 v12, v3, v1, 0x3020107
	v_and_b32_e32 v4, 0xff, v4
	s_delay_alu instid0(VALU_DEP_1) | instskip(SKIP_2) | instid1(VALU_DEP_3)
	v_or_b32_e32 v4, v4, v9
	v_cndmask_b32_e32 v9, v5, v10, vcc_lo
	v_perm_b32 v5, v5, v0, 0x5040100
	v_lshlrev_b32_e32 v4, 16, v4
	s_delay_alu instid0(VALU_DEP_3) | instskip(SKIP_1) | instid1(VALU_DEP_4)
	v_lshrrev_b32_e32 v10, 16, v9
	v_perm_b32 v11, v8, v9, 0x7060302
	v_cndmask_b32_e32 v0, v0, v5, vcc_lo
	s_delay_alu instid0(VALU_DEP_4) | instskip(NEXT) | instid1(VALU_DEP_4)
	v_and_or_b32 v4, 0xffff, v3, v4
	v_cmp_lt_u16_e64 s0, v8, v10
	v_alignbit_b32 v10, v2, v2, 16
	s_delay_alu instid0(VALU_DEP_2) | instskip(SKIP_1) | instid1(VALU_DEP_3)
	v_cndmask_b32_e64 v4, v3, v4, s0
	v_cndmask_b32_e64 v3, v8, v11, s0
	;; [unrolled: 1-line block ×4, first 2 shown]
	v_perm_b32 v8, v8, v9, 0x5040100
	s_delay_alu instid0(VALU_DEP_4) | instskip(NEXT) | instid1(VALU_DEP_4)
	v_lshrrev_b32_e32 v1, 16, v3
	v_perm_b32 v11, v10, v3, 0x5040100
	s_delay_alu instid0(VALU_DEP_4) | instskip(SKIP_1) | instid1(VALU_DEP_4)
	v_perm_b32 v12, v2, v2, 0x7050604
	v_perm_b32 v13, v10, v3, 0x7060302
	v_cmp_lt_u16_e64 s1, v10, v1
	v_cndmask_b32_e64 v1, v9, v8, s0
	s_delay_alu instid0(VALU_DEP_2)
	v_cndmask_b32_e64 v5, v2, v12, s1
	v_cndmask_b32_e64 v2, v3, v11, s1
	;; [unrolled: 1-line block ×3, first 2 shown]
	global_store_b128 v7, v[0:3], s[2:3]
	global_store_b64 v6, v[4:5], s[4:5]
	s_nop 0
	s_sendmsg sendmsg(MSG_DEALLOC_VGPRS)
	s_endpgm
	.section	.rodata,"a",@progbits
	.p2align	6, 0x0
	.amdhsa_kernel _Z16sort_keys_valuesILj256ELj8EtcN10test_utils4lessEEvPT1_PT2_T3_
		.amdhsa_group_segment_fixed_size 0
		.amdhsa_private_segment_fixed_size 0
		.amdhsa_kernarg_size 20
		.amdhsa_user_sgpr_count 15
		.amdhsa_user_sgpr_dispatch_ptr 0
		.amdhsa_user_sgpr_queue_ptr 0
		.amdhsa_user_sgpr_kernarg_segment_ptr 1
		.amdhsa_user_sgpr_dispatch_id 0
		.amdhsa_user_sgpr_private_segment_size 0
		.amdhsa_wavefront_size32 1
		.amdhsa_uses_dynamic_stack 0
		.amdhsa_enable_private_segment 0
		.amdhsa_system_sgpr_workgroup_id_x 1
		.amdhsa_system_sgpr_workgroup_id_y 0
		.amdhsa_system_sgpr_workgroup_id_z 0
		.amdhsa_system_sgpr_workgroup_info 0
		.amdhsa_system_vgpr_workitem_id 0
		.amdhsa_next_free_vgpr 14
		.amdhsa_next_free_sgpr 16
		.amdhsa_reserve_vcc 1
		.amdhsa_float_round_mode_32 0
		.amdhsa_float_round_mode_16_64 0
		.amdhsa_float_denorm_mode_32 3
		.amdhsa_float_denorm_mode_16_64 3
		.amdhsa_dx10_clamp 1
		.amdhsa_ieee_mode 1
		.amdhsa_fp16_overflow 0
		.amdhsa_workgroup_processor_mode 1
		.amdhsa_memory_ordered 1
		.amdhsa_forward_progress 0
		.amdhsa_shared_vgpr_count 0
		.amdhsa_exception_fp_ieee_invalid_op 0
		.amdhsa_exception_fp_denorm_src 0
		.amdhsa_exception_fp_ieee_div_zero 0
		.amdhsa_exception_fp_ieee_overflow 0
		.amdhsa_exception_fp_ieee_underflow 0
		.amdhsa_exception_fp_ieee_inexact 0
		.amdhsa_exception_int_div_zero 0
	.end_amdhsa_kernel
	.section	.text._Z16sort_keys_valuesILj256ELj8EtcN10test_utils4lessEEvPT1_PT2_T3_,"axG",@progbits,_Z16sort_keys_valuesILj256ELj8EtcN10test_utils4lessEEvPT1_PT2_T3_,comdat
.Lfunc_end21:
	.size	_Z16sort_keys_valuesILj256ELj8EtcN10test_utils4lessEEvPT1_PT2_T3_, .Lfunc_end21-_Z16sort_keys_valuesILj256ELj8EtcN10test_utils4lessEEvPT1_PT2_T3_
                                        ; -- End function
	.section	.AMDGPU.csdata,"",@progbits
; Kernel info:
; codeLenInByte = 2144
; NumSgprs: 18
; NumVgprs: 14
; ScratchSize: 0
; MemoryBound: 0
; FloatMode: 240
; IeeeMode: 1
; LDSByteSize: 0 bytes/workgroup (compile time only)
; SGPRBlocks: 2
; VGPRBlocks: 1
; NumSGPRsForWavesPerEU: 18
; NumVGPRsForWavesPerEU: 14
; Occupancy: 16
; WaveLimiterHint : 0
; COMPUTE_PGM_RSRC2:SCRATCH_EN: 0
; COMPUTE_PGM_RSRC2:USER_SGPR: 15
; COMPUTE_PGM_RSRC2:TRAP_HANDLER: 0
; COMPUTE_PGM_RSRC2:TGID_X_EN: 1
; COMPUTE_PGM_RSRC2:TGID_Y_EN: 0
; COMPUTE_PGM_RSRC2:TGID_Z_EN: 0
; COMPUTE_PGM_RSRC2:TIDIG_COMP_CNT: 0
	.section	.text._Z16sort_keys_valuesILj256ELj7EisN10test_utils4lessEEvPT1_PT2_T3_,"axG",@progbits,_Z16sort_keys_valuesILj256ELj7EisN10test_utils4lessEEvPT1_PT2_T3_,comdat
	.protected	_Z16sort_keys_valuesILj256ELj7EisN10test_utils4lessEEvPT1_PT2_T3_ ; -- Begin function _Z16sort_keys_valuesILj256ELj7EisN10test_utils4lessEEvPT1_PT2_T3_
	.globl	_Z16sort_keys_valuesILj256ELj7EisN10test_utils4lessEEvPT1_PT2_T3_
	.p2align	8
	.type	_Z16sort_keys_valuesILj256ELj7EisN10test_utils4lessEEvPT1_PT2_T3_,@function
_Z16sort_keys_valuesILj256ELj7EisN10test_utils4lessEEvPT1_PT2_T3_: ; @_Z16sort_keys_valuesILj256ELj7EisN10test_utils4lessEEvPT1_PT2_T3_
; %bb.0:
	s_load_b128 s[0:3], s[0:1], 0x0
	v_mul_u32_u24_e32 v0, 7, v0
	s_mov_b32 s5, 0
	s_mul_i32 s4, s15, 0x700
	s_delay_alu instid0(SALU_CYCLE_1) | instskip(NEXT) | instid1(VALU_DEP_1)
	s_lshl_b64 s[6:7], s[4:5], 2
	v_lshlrev_b32_e32 v28, 2, v0
	v_lshlrev_b32_e32 v29, 1, v0
	s_waitcnt lgkmcnt(0)
	s_add_u32 s0, s0, s6
	s_addc_u32 s1, s1, s7
	s_lshl_b64 s[4:5], s[4:5], 1
	s_clause 0x1
	global_load_b96 v[4:6], v28, s[0:1] offset:16
	global_load_b128 v[0:3], v28, s[0:1]
	s_add_u32 s2, s2, s4
	s_addc_u32 s3, s3, s5
	s_mov_b32 s4, exec_lo
	s_waitcnt vmcnt(0)
	v_dual_mov_b32 v13, v6 :: v_dual_mov_b32 v12, v5
	s_clause 0x1
	global_load_b96 v[24:26], v29, s[2:3]
	global_load_u16 v27, v29, s[2:3] offset:12
	v_dual_mov_b32 v11, v4 :: v_dual_mov_b32 v10, v3
	v_dual_mov_b32 v9, v2 :: v_dual_mov_b32 v8, v1
	v_mov_b32_e32 v7, v0
	v_mov_b32_e32 v30, v0
	v_cmpx_lt_i32_e64 v1, v0
	s_cbranch_execz .LBB22_2
; %bb.1:
	s_waitcnt vmcnt(1)
	v_alignbit_b32 v24, v24, v24, 16
	v_dual_mov_b32 v7, v1 :: v_dual_mov_b32 v8, v0
	v_dual_mov_b32 v9, v2 :: v_dual_mov_b32 v10, v3
	;; [unrolled: 1-line block ×4, first 2 shown]
	v_mov_b32_e32 v1, v0
.LBB22_2:
	s_or_b32 exec_lo, exec_lo, s4
	s_delay_alu instid0(VALU_DEP_2)
	v_dual_mov_b32 v23, v13 :: v_dual_mov_b32 v22, v12
	v_dual_mov_b32 v21, v11 :: v_dual_mov_b32 v20, v10
	v_dual_mov_b32 v19, v9 :: v_dual_mov_b32 v18, v8
	v_dual_mov_b32 v17, v7 :: v_dual_mov_b32 v0, v10
	s_mov_b32 s4, exec_lo
	v_cmpx_lt_i32_e64 v10, v9
	s_cbranch_execz .LBB22_4
; %bb.3:
	s_waitcnt vmcnt(1)
	v_alignbit_b32 v25, v25, v25, 16
	v_dual_mov_b32 v17, v7 :: v_dual_mov_b32 v18, v8
	v_dual_mov_b32 v19, v10 :: v_dual_mov_b32 v20, v9
	;; [unrolled: 1-line block ×3, first 2 shown]
	v_mov_b32_e32 v23, v13
	v_dual_mov_b32 v0, v9 :: v_dual_mov_b32 v9, v10
.LBB22_4:
	s_or_b32 exec_lo, exec_lo, s4
	v_dual_mov_b32 v10, v17 :: v_dual_mov_b32 v11, v18
	v_dual_mov_b32 v12, v19 :: v_dual_mov_b32 v13, v20
	;; [unrolled: 1-line block ×4, first 2 shown]
	s_mov_b32 s4, exec_lo
	v_cmpx_lt_i32_e64 v22, v21
	s_cbranch_execz .LBB22_6
; %bb.5:
	s_waitcnt vmcnt(1)
	v_alignbit_b32 v26, v26, v26, 16
	v_dual_mov_b32 v10, v17 :: v_dual_mov_b32 v11, v18
	v_dual_mov_b32 v12, v19 :: v_dual_mov_b32 v13, v20
	;; [unrolled: 1-line block ×4, first 2 shown]
	v_mov_b32_e32 v21, v22
.LBB22_6:
	s_or_b32 exec_lo, exec_lo, s4
	v_mov_b32_e32 v17, v9
	s_mov_b32 s4, exec_lo
	v_cmpx_lt_i32_e64 v9, v1
	s_xor_b32 s4, exec_lo, s4
	s_cbranch_execz .LBB22_8
; %bb.7:
	s_waitcnt vmcnt(1)
	v_perm_b32 v2, v25, v24, 0x5040100
	v_perm_b32 v25, v25, v24, 0x7060302
	v_mov_b32_e32 v11, v9
	v_mov_b32_e32 v12, v1
	s_delay_alu instid0(VALU_DEP_4)
	v_dual_mov_b32 v17, v1 :: v_dual_mov_b32 v24, v2
	v_mov_b32_e32 v1, v9
.LBB22_8:
	s_or_b32 exec_lo, exec_lo, s4
	v_mov_b32_e32 v18, v21
	s_mov_b32 s4, exec_lo
	v_cmpx_lt_i32_e64 v21, v0
	s_cbranch_execz .LBB22_10
; %bb.9:
	s_waitcnt vmcnt(1)
	v_perm_b32 v2, v26, v25, 0x5040100
	v_perm_b32 v26, v26, v25, 0x7060302
	v_dual_mov_b32 v13, v21 :: v_dual_mov_b32 v14, v0
	s_delay_alu instid0(VALU_DEP_3)
	v_dual_mov_b32 v18, v0 :: v_dual_mov_b32 v25, v2
	v_mov_b32_e32 v0, v21
.LBB22_10:
	s_or_b32 exec_lo, exec_lo, s4
	v_dual_mov_b32 v2, v10 :: v_dual_mov_b32 v3, v11
	v_dual_mov_b32 v4, v12 :: v_dual_mov_b32 v5, v13
	;; [unrolled: 1-line block ×3, first 2 shown]
	v_mov_b32_e32 v8, v16
	v_mov_b32_e32 v9, v16
	s_mov_b32 s4, exec_lo
	v_cmpx_lt_i32_e64 v16, v31
	s_cbranch_execz .LBB22_12
; %bb.11:
	v_mov_b32_e32 v15, v16
	s_waitcnt vmcnt(0)
	v_perm_b32 v19, v27, v26, 0x5040100
	v_dual_mov_b32 v9, v31 :: v_dual_mov_b32 v2, v10
	v_mov_b32_e32 v8, v16
	v_lshrrev_b32_e32 v27, 16, v26
	v_mov_b32_e32 v8, v31
	v_dual_mov_b32 v3, v11 :: v_dual_mov_b32 v4, v12
	v_dual_mov_b32 v5, v13 :: v_dual_mov_b32 v6, v14
	v_mov_b32_e32 v7, v15
	v_dual_mov_b32 v31, v16 :: v_dual_mov_b32 v26, v19
.LBB22_12:
	s_or_b32 exec_lo, exec_lo, s4
	v_mov_b32_e32 v10, v30
	s_mov_b32 s4, exec_lo
	v_cmpx_lt_i32_e64 v1, v30
	s_cbranch_execz .LBB22_14
; %bb.13:
	s_waitcnt vmcnt(1)
	v_alignbit_b32 v24, v24, v24, 16
	v_dual_mov_b32 v2, v1 :: v_dual_mov_b32 v3, v30
	v_dual_mov_b32 v10, v1 :: v_dual_mov_b32 v1, v30
.LBB22_14:
	s_or_b32 exec_lo, exec_lo, s4
	v_mov_b32_e32 v11, v0
	s_mov_b32 s4, exec_lo
	v_cmpx_lt_i32_e64 v0, v17
	s_cbranch_execz .LBB22_16
; %bb.15:
	s_waitcnt vmcnt(1)
	v_alignbit_b32 v25, v25, v25, 16
	v_dual_mov_b32 v4, v0 :: v_dual_mov_b32 v5, v17
	v_mov_b32_e32 v11, v17
	v_mov_b32_e32 v17, v0
.LBB22_16:
	s_or_b32 exec_lo, exec_lo, s4
	v_mov_b32_e32 v12, v31
	s_mov_b32 s4, exec_lo
	v_cmpx_lt_i32_e64 v31, v18
	s_cbranch_execz .LBB22_18
; %bb.17:
	s_waitcnt vmcnt(1)
	v_alignbit_b32 v26, v26, v26, 16
	v_dual_mov_b32 v6, v31 :: v_dual_mov_b32 v7, v18
	v_mov_b32_e32 v12, v18
	v_mov_b32_e32 v18, v31
.LBB22_18:
	s_or_b32 exec_lo, exec_lo, s4
	v_mov_b32_e32 v13, v17
	s_mov_b32 s4, exec_lo
	v_cmpx_lt_i32_e64 v17, v1
	s_cbranch_execz .LBB22_20
; %bb.19:
	s_waitcnt vmcnt(1)
	v_perm_b32 v0, v25, v24, 0x5040100
	v_perm_b32 v25, v25, v24, 0x7060302
	v_mov_b32_e32 v3, v17
	v_mov_b32_e32 v4, v1
	s_delay_alu instid0(VALU_DEP_4)
	v_dual_mov_b32 v13, v1 :: v_dual_mov_b32 v24, v0
	v_mov_b32_e32 v1, v17
.LBB22_20:
	s_or_b32 exec_lo, exec_lo, s4
	v_mov_b32_e32 v0, v18
	s_mov_b32 s4, exec_lo
	v_cmpx_lt_i32_e64 v18, v11
	s_cbranch_execz .LBB22_22
; %bb.21:
	s_waitcnt vmcnt(1)
	v_perm_b32 v14, v26, v25, 0x5040100
	v_perm_b32 v26, v26, v25, 0x7060302
	v_dual_mov_b32 v5, v18 :: v_dual_mov_b32 v6, v11
	v_dual_mov_b32 v0, v11 :: v_dual_mov_b32 v11, v18
	s_delay_alu instid0(VALU_DEP_4)
	v_mov_b32_e32 v25, v14
.LBB22_22:
	s_or_b32 exec_lo, exec_lo, s4
	v_mov_b32_e32 v14, v9
	s_mov_b32 s4, exec_lo
	v_cmpx_lt_i32_e64 v9, v12
	s_cbranch_execz .LBB22_24
; %bb.23:
	s_waitcnt vmcnt(0)
	v_perm_b32 v15, v27, v26, 0x5040100
	v_dual_mov_b32 v7, v9 :: v_dual_mov_b32 v8, v12
	v_lshrrev_b32_e32 v27, 16, v26
	v_mov_b32_e32 v14, v12
	v_mov_b32_e32 v12, v9
	;; [unrolled: 1-line block ×3, first 2 shown]
.LBB22_24:
	s_or_b32 exec_lo, exec_lo, s4
	v_mov_b32_e32 v15, v10
	s_mov_b32 s4, exec_lo
	v_cmpx_lt_i32_e64 v1, v10
	s_cbranch_execz .LBB22_26
; %bb.25:
	s_waitcnt vmcnt(1)
	v_alignbit_b32 v24, v24, v24, 16
	v_dual_mov_b32 v2, v1 :: v_dual_mov_b32 v3, v10
	v_mov_b32_e32 v15, v1
	v_mov_b32_e32 v1, v10
.LBB22_26:
	s_or_b32 exec_lo, exec_lo, s4
	v_mov_b32_e32 v16, v11
	s_mov_b32 s4, exec_lo
	v_cmpx_lt_i32_e64 v11, v13
	s_cbranch_execz .LBB22_28
; %bb.27:
	s_waitcnt vmcnt(1)
	v_alignbit_b32 v25, v25, v25, 16
	v_dual_mov_b32 v4, v11 :: v_dual_mov_b32 v5, v13
	v_dual_mov_b32 v16, v13 :: v_dual_mov_b32 v13, v11
.LBB22_28:
	s_or_b32 exec_lo, exec_lo, s4
	v_mov_b32_e32 v17, v12
	s_mov_b32 s4, exec_lo
	v_cmpx_lt_i32_e64 v12, v0
	s_cbranch_execz .LBB22_30
; %bb.29:
	s_waitcnt vmcnt(1)
	v_alignbit_b32 v26, v26, v26, 16
	v_mov_b32_e32 v6, v12
	v_mov_b32_e32 v7, v0
	;; [unrolled: 1-line block ×4, first 2 shown]
.LBB22_30:
	s_or_b32 exec_lo, exec_lo, s4
	v_add_co_u32 v11, s0, s0, v28
	s_delay_alu instid0(VALU_DEP_1) | instskip(SKIP_1) | instid1(VALU_DEP_1)
	v_add_co_ci_u32_e64 v12, null, s1, 0, s0
	v_add_co_u32 v9, s0, s2, v29
	v_add_co_ci_u32_e64 v10, null, s3, 0, s0
	v_mov_b32_e32 v18, v13
	s_mov_b32 s0, exec_lo
	v_cmpx_lt_i32_e64 v13, v1
	s_cbranch_execz .LBB22_32
; %bb.31:
	s_waitcnt vmcnt(1)
	v_perm_b32 v19, v25, v24, 0x5040100
	v_perm_b32 v25, v25, v24, 0x7060302
	v_mov_b32_e32 v3, v13
	v_mov_b32_e32 v4, v1
	;; [unrolled: 1-line block ×3, first 2 shown]
	v_dual_mov_b32 v24, v19 :: v_dual_mov_b32 v1, v13
.LBB22_32:
	s_or_b32 exec_lo, exec_lo, s0
	v_mov_b32_e32 v13, v0
	s_mov_b32 s0, exec_lo
	v_cmpx_lt_i32_e64 v0, v16
	s_cbranch_execz .LBB22_34
; %bb.33:
	s_waitcnt vmcnt(1)
	v_perm_b32 v19, v26, v25, 0x5040100
	v_perm_b32 v26, v26, v25, 0x7060302
	v_mov_b32_e32 v5, v0
	v_mov_b32_e32 v6, v16
	;; [unrolled: 1-line block ×3, first 2 shown]
	v_dual_mov_b32 v25, v19 :: v_dual_mov_b32 v16, v0
.LBB22_34:
	s_or_b32 exec_lo, exec_lo, s0
	v_cmp_lt_i32_e32 vcc_lo, v14, v17
	s_waitcnt vmcnt(0)
	v_and_b32_e32 v0, 0xffff, v27
	v_alignbit_b32 v19, s0, v26, 16
	v_cmp_lt_i32_e64 s0, v1, v15
	v_perm_b32 v20, v27, v26, 0x5040100
	v_dual_cndmask_b32 v7, v7, v14 :: v_dual_cndmask_b32 v8, v8, v17
	v_min_i32_e32 v17, v14, v17
	s_delay_alu instid0(VALU_DEP_4)
	v_cndmask_b32_e64 v2, v2, v1, s0
	v_alignbit_b32 v1, v25, v25, 16
	v_cndmask_b32_e32 v0, v0, v19, vcc_lo
	v_alignbit_b32 v19, v24, v24, 16
	v_cndmask_b32_e32 v20, v26, v20, vcc_lo
	v_cmp_lt_i32_e32 vcc_lo, v16, v18
	v_cndmask_b32_e64 v3, v3, v15, s0
	s_delay_alu instid0(VALU_DEP_4)
	v_cndmask_b32_e64 v14, v24, v19, s0
	v_cmp_lt_i32_e64 s0, v17, v13
	v_cndmask_b32_e32 v15, v25, v1, vcc_lo
	v_cndmask_b32_e32 v5, v5, v18, vcc_lo
	v_alignbit_b32 v18, v20, v20, 16
	v_cndmask_b32_e32 v4, v4, v16, vcc_lo
	v_cndmask_b32_e64 v7, v7, v13, s0
	v_cndmask_b32_e64 v6, v6, v17, s0
	s_delay_alu instid0(VALU_DEP_4)
	v_cndmask_b32_e64 v16, v20, v18, s0
	s_clause 0x1
	global_store_b128 v[11:12], v[2:5], off
	global_store_b96 v[11:12], v[6:8], off offset:16
	s_clause 0x1
	global_store_b16 v[9:10], v0, off offset:12
	global_store_b96 v[9:10], v[14:16], off
	s_nop 0
	s_sendmsg sendmsg(MSG_DEALLOC_VGPRS)
	s_endpgm
	.section	.rodata,"a",@progbits
	.p2align	6, 0x0
	.amdhsa_kernel _Z16sort_keys_valuesILj256ELj7EisN10test_utils4lessEEvPT1_PT2_T3_
		.amdhsa_group_segment_fixed_size 0
		.amdhsa_private_segment_fixed_size 0
		.amdhsa_kernarg_size 20
		.amdhsa_user_sgpr_count 15
		.amdhsa_user_sgpr_dispatch_ptr 0
		.amdhsa_user_sgpr_queue_ptr 0
		.amdhsa_user_sgpr_kernarg_segment_ptr 1
		.amdhsa_user_sgpr_dispatch_id 0
		.amdhsa_user_sgpr_private_segment_size 0
		.amdhsa_wavefront_size32 1
		.amdhsa_uses_dynamic_stack 0
		.amdhsa_enable_private_segment 0
		.amdhsa_system_sgpr_workgroup_id_x 1
		.amdhsa_system_sgpr_workgroup_id_y 0
		.amdhsa_system_sgpr_workgroup_id_z 0
		.amdhsa_system_sgpr_workgroup_info 0
		.amdhsa_system_vgpr_workitem_id 0
		.amdhsa_next_free_vgpr 32
		.amdhsa_next_free_sgpr 16
		.amdhsa_reserve_vcc 1
		.amdhsa_float_round_mode_32 0
		.amdhsa_float_round_mode_16_64 0
		.amdhsa_float_denorm_mode_32 3
		.amdhsa_float_denorm_mode_16_64 3
		.amdhsa_dx10_clamp 1
		.amdhsa_ieee_mode 1
		.amdhsa_fp16_overflow 0
		.amdhsa_workgroup_processor_mode 1
		.amdhsa_memory_ordered 1
		.amdhsa_forward_progress 0
		.amdhsa_shared_vgpr_count 0
		.amdhsa_exception_fp_ieee_invalid_op 0
		.amdhsa_exception_fp_denorm_src 0
		.amdhsa_exception_fp_ieee_div_zero 0
		.amdhsa_exception_fp_ieee_overflow 0
		.amdhsa_exception_fp_ieee_underflow 0
		.amdhsa_exception_fp_ieee_inexact 0
		.amdhsa_exception_int_div_zero 0
	.end_amdhsa_kernel
	.section	.text._Z16sort_keys_valuesILj256ELj7EisN10test_utils4lessEEvPT1_PT2_T3_,"axG",@progbits,_Z16sort_keys_valuesILj256ELj7EisN10test_utils4lessEEvPT1_PT2_T3_,comdat
.Lfunc_end22:
	.size	_Z16sort_keys_valuesILj256ELj7EisN10test_utils4lessEEvPT1_PT2_T3_, .Lfunc_end22-_Z16sort_keys_valuesILj256ELj7EisN10test_utils4lessEEvPT1_PT2_T3_
                                        ; -- End function
	.section	.AMDGPU.csdata,"",@progbits
; Kernel info:
; codeLenInByte = 1620
; NumSgprs: 18
; NumVgprs: 32
; ScratchSize: 0
; MemoryBound: 0
; FloatMode: 240
; IeeeMode: 1
; LDSByteSize: 0 bytes/workgroup (compile time only)
; SGPRBlocks: 2
; VGPRBlocks: 3
; NumSGPRsForWavesPerEU: 18
; NumVGPRsForWavesPerEU: 32
; Occupancy: 16
; WaveLimiterHint : 0
; COMPUTE_PGM_RSRC2:SCRATCH_EN: 0
; COMPUTE_PGM_RSRC2:USER_SGPR: 15
; COMPUTE_PGM_RSRC2:TRAP_HANDLER: 0
; COMPUTE_PGM_RSRC2:TGID_X_EN: 1
; COMPUTE_PGM_RSRC2:TGID_Y_EN: 0
; COMPUTE_PGM_RSRC2:TGID_Z_EN: 0
; COMPUTE_PGM_RSRC2:TIDIG_COMP_CNT: 0
	.section	.text._Z16sort_keys_valuesILj256ELj6EfcN10test_utils7greaterEEvPT1_PT2_T3_,"axG",@progbits,_Z16sort_keys_valuesILj256ELj6EfcN10test_utils7greaterEEvPT1_PT2_T3_,comdat
	.protected	_Z16sort_keys_valuesILj256ELj6EfcN10test_utils7greaterEEvPT1_PT2_T3_ ; -- Begin function _Z16sort_keys_valuesILj256ELj6EfcN10test_utils7greaterEEvPT1_PT2_T3_
	.globl	_Z16sort_keys_valuesILj256ELj6EfcN10test_utils7greaterEEvPT1_PT2_T3_
	.p2align	8
	.type	_Z16sort_keys_valuesILj256ELj6EfcN10test_utils7greaterEEvPT1_PT2_T3_,@function
_Z16sort_keys_valuesILj256ELj6EfcN10test_utils7greaterEEvPT1_PT2_T3_: ; @_Z16sort_keys_valuesILj256ELj6EfcN10test_utils7greaterEEvPT1_PT2_T3_
; %bb.0:
	s_load_b128 s[0:3], s[0:1], 0x0
	s_mov_b32 s7, 0
	s_mul_i32 s6, s15, 0x600
	v_mul_u32_u24_e32 v6, 6, v0
	s_lshl_b64 s[4:5], s[6:7], 2
	s_delay_alu instid0(VALU_DEP_1)
	v_lshlrev_b32_e32 v8, 2, v6
	s_waitcnt lgkmcnt(0)
	s_add_u32 s4, s0, s4
	s_addc_u32 s5, s1, s5
	s_add_u32 s6, s2, s6
	s_addc_u32 s7, s3, 0
	global_load_b32 v7, v6, s[6:7]
	global_load_b128 v[0:3], v8, s[4:5]
	global_load_u16 v9, v6, s[6:7] offset:4
	global_load_b64 v[4:5], v8, s[4:5] offset:16
	s_waitcnt vmcnt(2)
	v_cmp_gt_f32_e32 vcc_lo, v1, v0
	v_lshrrev_b32_e32 v10, 8, v7
	v_lshlrev_b16 v11, 8, v7
	v_cmp_gt_f32_e64 s0, v3, v2
	s_waitcnt vmcnt(1)
	v_and_b32_e32 v13, 0xffff, v9
	v_perm_b32 v9, 0, v9, 0xc0c0001
	v_and_b32_e32 v10, 0xff, v10
	s_waitcnt vmcnt(0)
	v_cmp_gt_f32_e64 s2, v5, v4
	s_delay_alu instid0(VALU_DEP_2) | instskip(SKIP_1) | instid1(VALU_DEP_3)
	v_or_b32_e32 v10, v10, v11
	v_cndmask_b32_e64 v11, v2, v3, s0
	v_cndmask_b32_e64 v9, v13, v9, s2
	;; [unrolled: 1-line block ×3, first 2 shown]
	s_delay_alu instid0(VALU_DEP_4) | instskip(NEXT) | instid1(VALU_DEP_3)
	v_and_b32_e32 v10, 0xffff, v10
	v_lshlrev_b16 v13, 8, v9
	v_and_b32_e32 v14, 0xffffff00, v9
	s_delay_alu instid0(VALU_DEP_3) | instskip(NEXT) | instid1(VALU_DEP_1)
	v_and_or_b32 v10, 0xffff0000, v7, v10
	v_cndmask_b32_e32 v7, v7, v10, vcc_lo
	s_delay_alu instid0(VALU_DEP_1) | instskip(NEXT) | instid1(VALU_DEP_1)
	v_lshrrev_b32_e32 v10, 16, v7
	v_perm_b32 v10, 0, v10, 0xc0c0001
	s_delay_alu instid0(VALU_DEP_1) | instskip(NEXT) | instid1(VALU_DEP_1)
	v_lshlrev_b32_e32 v10, 16, v10
	v_and_or_b32 v10, 0xffff, v7, v10
	s_delay_alu instid0(VALU_DEP_1) | instskip(SKIP_1) | instid1(VALU_DEP_2)
	v_cndmask_b32_e64 v7, v7, v10, s0
	v_cndmask_b32_e32 v10, v1, v0, vcc_lo
	v_perm_b32 v12, v7, v7, 0x7050604
	s_delay_alu instid0(VALU_DEP_2) | instskip(NEXT) | instid1(VALU_DEP_1)
	v_cmp_gt_f32_e64 s1, v11, v10
	v_cndmask_b32_e64 v7, v7, v12, s1
	s_delay_alu instid0(VALU_DEP_1) | instskip(NEXT) | instid1(VALU_DEP_1)
	v_lshrrev_b32_e32 v12, 16, v7
	v_and_b32_e32 v12, 0xff, v12
	s_delay_alu instid0(VALU_DEP_1) | instskip(SKIP_2) | instid1(VALU_DEP_3)
	v_or_b32_e32 v12, v12, v13
	v_cndmask_b32_e64 v13, v4, v5, s2
	v_cndmask_b32_e64 v4, v5, v4, s2
	v_lshlrev_b32_e32 v12, 16, v12
	s_delay_alu instid0(VALU_DEP_3) | instskip(NEXT) | instid1(VALU_DEP_2)
	v_cmp_gt_f32_e64 s0, v13, v2
	v_and_or_b32 v3, 0xffff, v7, v12
	s_delay_alu instid0(VALU_DEP_1) | instskip(SKIP_1) | instid1(VALU_DEP_2)
	v_cndmask_b32_e64 v3, v7, v3, s0
	v_lshrrev_b32_e32 v7, 24, v7
	v_perm_b32 v12, 0, v3, 0xc0c0001
	s_delay_alu instid0(VALU_DEP_2)
	v_or_b32_e32 v7, v7, v14
	v_cndmask_b32_e32 v0, v0, v1, vcc_lo
	v_cndmask_b32_e64 v1, v10, v11, s1
	v_cndmask_b32_e64 v10, v11, v10, s1
	v_and_or_b32 v12, 0xffff0000, v3, v12
	v_and_b32_e32 v7, 0xffff, v7
	v_cndmask_b32_e64 v11, v2, v13, s0
	v_cmp_gt_f32_e32 vcc_lo, v1, v0
	v_cndmask_b32_e64 v2, v13, v2, s0
	s_delay_alu instid0(VALU_DEP_4) | instskip(NEXT) | instid1(VALU_DEP_4)
	v_cndmask_b32_e64 v7, v9, v7, s0
	v_cmp_gt_f32_e64 s1, v11, v10
	v_cndmask_b32_e32 v3, v3, v12, vcc_lo
	v_cndmask_b32_e32 v9, v1, v0, vcc_lo
	v_cmp_gt_f32_e64 s2, v4, v2
	v_perm_b32 v5, 0, v7, 0xc0c0001
	v_cndmask_b32_e32 v0, v0, v1, vcc_lo
	v_lshrrev_b32_e32 v12, 16, v3
	s_delay_alu instid0(VALU_DEP_3) | instskip(NEXT) | instid1(VALU_DEP_2)
	v_cndmask_b32_e64 v5, v7, v5, s2
	v_perm_b32 v12, 0, v12, 0xc0c0001
	s_delay_alu instid0(VALU_DEP_2) | instskip(NEXT) | instid1(VALU_DEP_2)
	v_lshlrev_b16 v13, 8, v5
	v_lshlrev_b32_e32 v12, 16, v12
	s_delay_alu instid0(VALU_DEP_1) | instskip(NEXT) | instid1(VALU_DEP_1)
	v_and_or_b32 v12, 0xffff, v3, v12
	v_cndmask_b32_e64 v3, v3, v12, s1
	v_cndmask_b32_e64 v12, v10, v11, s1
	;; [unrolled: 1-line block ×3, first 2 shown]
	s_delay_alu instid0(VALU_DEP_3) | instskip(NEXT) | instid1(VALU_DEP_3)
	v_perm_b32 v14, v3, v3, 0x7050604
	v_cmp_gt_f32_e64 s0, v12, v9
	s_delay_alu instid0(VALU_DEP_1) | instskip(SKIP_3) | instid1(VALU_DEP_4)
	v_cndmask_b32_e64 v3, v3, v14, s0
	v_cndmask_b32_e64 v1, v9, v12, s0
	;; [unrolled: 1-line block ×3, first 2 shown]
	v_and_b32_e32 v14, 0xffffff00, v5
	v_lshrrev_b32_e32 v7, 16, v3
	s_delay_alu instid0(VALU_DEP_4) | instskip(NEXT) | instid1(VALU_DEP_2)
	v_cmp_gt_f32_e32 vcc_lo, v1, v0
	v_and_b32_e32 v7, 0xff, v7
	s_delay_alu instid0(VALU_DEP_1) | instskip(SKIP_2) | instid1(VALU_DEP_3)
	v_or_b32_e32 v7, v7, v13
	v_cndmask_b32_e64 v13, v2, v4, s2
	v_cndmask_b32_e64 v2, v4, v2, s2
	v_lshlrev_b32_e32 v7, 16, v7
	s_delay_alu instid0(VALU_DEP_3) | instskip(NEXT) | instid1(VALU_DEP_2)
	v_cmp_gt_f32_e64 s1, v13, v10
	v_and_or_b32 v7, 0xffff, v3, v7
	s_delay_alu instid0(VALU_DEP_2) | instskip(SKIP_1) | instid1(VALU_DEP_3)
	v_cndmask_b32_e64 v12, v10, v13, s1
	v_cndmask_b32_e64 v4, v13, v10, s1
	;; [unrolled: 1-line block ×3, first 2 shown]
	v_lshrrev_b32_e32 v3, 24, v3
	s_delay_alu instid0(VALU_DEP_4) | instskip(NEXT) | instid1(VALU_DEP_4)
	v_cmp_gt_f32_e64 s0, v12, v9
	v_cmp_gt_f32_e64 s2, v2, v4
	s_delay_alu instid0(VALU_DEP_4) | instskip(NEXT) | instid1(VALU_DEP_4)
	v_perm_b32 v11, 0, v7, 0xc0c0001
	v_or_b32_e32 v3, v3, v14
	s_delay_alu instid0(VALU_DEP_4) | instskip(NEXT) | instid1(VALU_DEP_4)
	v_cndmask_b32_e64 v14, v9, v12, s0
	v_cndmask_b32_e64 v16, v4, v2, s2
	v_cndmask_b32_e64 v9, v12, v9, s0
	v_and_or_b32 v11, 0xffff0000, v7, v11
	v_and_b32_e32 v3, 0xffff, v3
	s_delay_alu instid0(VALU_DEP_2) | instskip(NEXT) | instid1(VALU_DEP_2)
	v_cndmask_b32_e32 v7, v7, v11, vcc_lo
	v_cndmask_b32_e64 v3, v5, v3, s1
	s_delay_alu instid0(VALU_DEP_2) | instskip(NEXT) | instid1(VALU_DEP_2)
	v_lshrrev_b32_e32 v11, 16, v7
	v_perm_b32 v10, 0, v3, 0xc0c0001
	s_delay_alu instid0(VALU_DEP_2) | instskip(NEXT) | instid1(VALU_DEP_2)
	v_perm_b32 v11, 0, v11, 0xc0c0001
	v_cndmask_b32_e64 v10, v3, v10, s2
	s_delay_alu instid0(VALU_DEP_2) | instskip(NEXT) | instid1(VALU_DEP_2)
	v_lshlrev_b32_e32 v11, 16, v11
	v_and_b32_e32 v13, 0xffffff00, v10
	s_delay_alu instid0(VALU_DEP_2) | instskip(NEXT) | instid1(VALU_DEP_1)
	v_and_or_b32 v11, 0xffff, v7, v11
	v_cndmask_b32_e64 v7, v7, v11, s0
	v_dual_cndmask_b32 v11, v1, v0 :: v_dual_cndmask_b32 v0, v0, v1
	v_cmp_gt_f32_e32 vcc_lo, v16, v9
	s_delay_alu instid0(VALU_DEP_3) | instskip(NEXT) | instid1(VALU_DEP_3)
	v_perm_b32 v5, v7, v7, 0x7050604
	v_cmp_gt_f32_e64 s1, v14, v11
	s_delay_alu instid0(VALU_DEP_1) | instskip(SKIP_2) | instid1(VALU_DEP_3)
	v_cndmask_b32_e64 v7, v7, v5, s1
	v_lshlrev_b16 v5, 8, v10
	v_cndmask_b32_e64 v1, v11, v14, s1
	v_lshrrev_b32_e32 v3, 16, v7
	v_lshrrev_b32_e32 v15, 24, v7
	s_delay_alu instid0(VALU_DEP_2) | instskip(NEXT) | instid1(VALU_DEP_1)
	v_and_b32_e32 v3, 0xff, v3
	v_or_b32_e32 v3, v3, v5
	v_cndmask_b32_e64 v5, v2, v4, s2
	s_delay_alu instid0(VALU_DEP_4) | instskip(SKIP_1) | instid1(VALU_DEP_4)
	v_or_b32_e32 v4, v15, v13
	v_cndmask_b32_e64 v2, v14, v11, s1
	v_lshlrev_b32_e32 v3, 16, v3
	s_delay_alu instid0(VALU_DEP_3) | instskip(SKIP_1) | instid1(VALU_DEP_3)
	v_and_b32_e32 v12, 0xffff, v4
	v_cndmask_b32_e32 v4, v16, v9, vcc_lo
	v_and_or_b32 v3, 0xffff, v7, v3
	s_delay_alu instid0(VALU_DEP_1)
	v_cndmask_b32_e32 v7, v7, v3, vcc_lo
	v_cndmask_b32_e32 v3, v9, v16, vcc_lo
	;; [unrolled: 1-line block ×3, first 2 shown]
	s_clause 0x1
	global_store_b128 v8, v[0:3], s[4:5]
	global_store_b64 v8, v[4:5], s[4:5] offset:16
	s_clause 0x1
	global_store_b16 v6, v9, s[6:7] offset:4
	global_store_b32 v6, v7, s[6:7]
	s_nop 0
	s_sendmsg sendmsg(MSG_DEALLOC_VGPRS)
	s_endpgm
	.section	.rodata,"a",@progbits
	.p2align	6, 0x0
	.amdhsa_kernel _Z16sort_keys_valuesILj256ELj6EfcN10test_utils7greaterEEvPT1_PT2_T3_
		.amdhsa_group_segment_fixed_size 0
		.amdhsa_private_segment_fixed_size 0
		.amdhsa_kernarg_size 20
		.amdhsa_user_sgpr_count 15
		.amdhsa_user_sgpr_dispatch_ptr 0
		.amdhsa_user_sgpr_queue_ptr 0
		.amdhsa_user_sgpr_kernarg_segment_ptr 1
		.amdhsa_user_sgpr_dispatch_id 0
		.amdhsa_user_sgpr_private_segment_size 0
		.amdhsa_wavefront_size32 1
		.amdhsa_uses_dynamic_stack 0
		.amdhsa_enable_private_segment 0
		.amdhsa_system_sgpr_workgroup_id_x 1
		.amdhsa_system_sgpr_workgroup_id_y 0
		.amdhsa_system_sgpr_workgroup_id_z 0
		.amdhsa_system_sgpr_workgroup_info 0
		.amdhsa_system_vgpr_workitem_id 0
		.amdhsa_next_free_vgpr 17
		.amdhsa_next_free_sgpr 16
		.amdhsa_reserve_vcc 1
		.amdhsa_float_round_mode_32 0
		.amdhsa_float_round_mode_16_64 0
		.amdhsa_float_denorm_mode_32 3
		.amdhsa_float_denorm_mode_16_64 3
		.amdhsa_dx10_clamp 1
		.amdhsa_ieee_mode 1
		.amdhsa_fp16_overflow 0
		.amdhsa_workgroup_processor_mode 1
		.amdhsa_memory_ordered 1
		.amdhsa_forward_progress 0
		.amdhsa_shared_vgpr_count 0
		.amdhsa_exception_fp_ieee_invalid_op 0
		.amdhsa_exception_fp_denorm_src 0
		.amdhsa_exception_fp_ieee_div_zero 0
		.amdhsa_exception_fp_ieee_overflow 0
		.amdhsa_exception_fp_ieee_underflow 0
		.amdhsa_exception_fp_ieee_inexact 0
		.amdhsa_exception_int_div_zero 0
	.end_amdhsa_kernel
	.section	.text._Z16sort_keys_valuesILj256ELj6EfcN10test_utils7greaterEEvPT1_PT2_T3_,"axG",@progbits,_Z16sort_keys_valuesILj256ELj6EfcN10test_utils7greaterEEvPT1_PT2_T3_,comdat
.Lfunc_end23:
	.size	_Z16sort_keys_valuesILj256ELj6EfcN10test_utils7greaterEEvPT1_PT2_T3_, .Lfunc_end23-_Z16sort_keys_valuesILj256ELj6EfcN10test_utils7greaterEEvPT1_PT2_T3_
                                        ; -- End function
	.section	.AMDGPU.csdata,"",@progbits
; Kernel info:
; codeLenInByte = 1192
; NumSgprs: 18
; NumVgprs: 17
; ScratchSize: 0
; MemoryBound: 0
; FloatMode: 240
; IeeeMode: 1
; LDSByteSize: 0 bytes/workgroup (compile time only)
; SGPRBlocks: 2
; VGPRBlocks: 2
; NumSGPRsForWavesPerEU: 18
; NumVGPRsForWavesPerEU: 17
; Occupancy: 16
; WaveLimiterHint : 0
; COMPUTE_PGM_RSRC2:SCRATCH_EN: 0
; COMPUTE_PGM_RSRC2:USER_SGPR: 15
; COMPUTE_PGM_RSRC2:TRAP_HANDLER: 0
; COMPUTE_PGM_RSRC2:TGID_X_EN: 1
; COMPUTE_PGM_RSRC2:TGID_Y_EN: 0
; COMPUTE_PGM_RSRC2:TGID_Z_EN: 0
; COMPUTE_PGM_RSRC2:TIDIG_COMP_CNT: 0
	.section	.text._Z16sort_keys_valuesILj256ELj5EtcN10test_utils4lessEEvPT1_PT2_T3_,"axG",@progbits,_Z16sort_keys_valuesILj256ELj5EtcN10test_utils4lessEEvPT1_PT2_T3_,comdat
	.protected	_Z16sort_keys_valuesILj256ELj5EtcN10test_utils4lessEEvPT1_PT2_T3_ ; -- Begin function _Z16sort_keys_valuesILj256ELj5EtcN10test_utils4lessEEvPT1_PT2_T3_
	.globl	_Z16sort_keys_valuesILj256ELj5EtcN10test_utils4lessEEvPT1_PT2_T3_
	.p2align	8
	.type	_Z16sort_keys_valuesILj256ELj5EtcN10test_utils4lessEEvPT1_PT2_T3_,@function
_Z16sort_keys_valuesILj256ELj5EtcN10test_utils4lessEEvPT1_PT2_T3_: ; @_Z16sort_keys_valuesILj256ELj5EtcN10test_utils4lessEEvPT1_PT2_T3_
; %bb.0:
	s_load_b128 s[4:7], s[0:1], 0x0
	v_mul_u32_u24_e32 v4, 5, v0
	s_mov_b32 s1, 0
	s_mul_i32 s0, s15, 0x500
	s_delay_alu instid0(SALU_CYCLE_1) | instskip(NEXT) | instid1(VALU_DEP_1)
	s_lshl_b64 s[2:3], s[0:1], 1
	v_lshlrev_b32_e32 v5, 1, v4
	s_waitcnt lgkmcnt(0)
	s_add_u32 s2, s4, s2
	s_addc_u32 s3, s5, s3
	s_add_u32 s4, s6, s0
	s_addc_u32 s5, s7, 0
	global_load_b64 v[0:1], v5, s[2:3]
	s_clause 0x1
	global_load_b32 v2, v4, s[4:5]
	global_load_u8 v3, v4, s[4:5] offset:4
	global_load_u16 v6, v5, s[2:3] offset:8
	s_waitcnt vmcnt(3)
	v_lshrrev_b32_e32 v7, 16, v0
	s_waitcnt vmcnt(2)
	v_perm_b32 v8, v2, v2, 0x7060405
	v_lshrrev_b32_e32 v9, 16, v1
	s_waitcnt vmcnt(1)
	v_perm_b32 v3, v3, 0, 0x3020104
	v_cmp_lt_u16_e32 vcc_lo, v7, v0
	s_delay_alu instid0(VALU_DEP_2) | instskip(SKIP_2) | instid1(VALU_DEP_2)
	v_lshlrev_b16 v10, 8, v3
	v_cndmask_b32_e32 v2, v2, v8, vcc_lo
	v_alignbit_b32 v8, v0, v0, 16
	v_lshrrev_b32_e32 v7, 16, v2
	s_delay_alu instid0(VALU_DEP_2) | instskip(SKIP_1) | instid1(VALU_DEP_3)
	v_cndmask_b32_e32 v0, v0, v8, vcc_lo
	v_cmp_lt_u16_e32 vcc_lo, v9, v1
	v_perm_b32 v7, 0, v7, 0xc0c0001
	s_delay_alu instid0(VALU_DEP_3) | instskip(NEXT) | instid1(VALU_DEP_2)
	v_lshrrev_b32_e32 v8, 16, v0
	v_lshlrev_b32_e32 v7, 16, v7
	s_delay_alu instid0(VALU_DEP_1) | instskip(NEXT) | instid1(VALU_DEP_1)
	v_and_or_b32 v7, 0xffff, v2, v7
	v_cndmask_b32_e32 v2, v2, v7, vcc_lo
	v_min_u16 v7, v9, v1
	s_delay_alu instid0(VALU_DEP_2) | instskip(NEXT) | instid1(VALU_DEP_2)
	v_perm_b32 v9, v2, v2, 0x7050604
	v_cmp_lt_u16_e64 s0, v7, v8
	v_alignbit_b32 v8, v1, v1, 16
	v_perm_b32 v7, v7, v0, 0x5040100
	s_delay_alu instid0(VALU_DEP_3) | instskip(NEXT) | instid1(VALU_DEP_1)
	v_cndmask_b32_e64 v2, v2, v9, s0
	v_lshrrev_b32_e32 v9, 16, v2
	s_delay_alu instid0(VALU_DEP_1) | instskip(NEXT) | instid1(VALU_DEP_1)
	v_dual_cndmask_b32 v1, v1, v8 :: v_dual_and_b32 v8, 0xff, v9
	v_perm_b32 v9, v1, v0, 0x7060302
	v_cndmask_b32_e64 v0, v0, v7, s0
	s_delay_alu instid0(VALU_DEP_3) | instskip(NEXT) | instid1(VALU_DEP_3)
	v_or_b32_e32 v8, v8, v10
	v_cndmask_b32_e64 v1, v1, v9, s0
	s_delay_alu instid0(VALU_DEP_3) | instskip(NEXT) | instid1(VALU_DEP_3)
	v_alignbit_b32 v10, v0, v0, 16
	v_lshlrev_b32_e32 v8, 16, v8
	s_delay_alu instid0(VALU_DEP_3) | instskip(NEXT) | instid1(VALU_DEP_2)
	v_lshrrev_b32_e32 v9, 16, v1
	v_and_or_b32 v8, 0xffff, v2, v8
	s_waitcnt vmcnt(0)
	s_delay_alu instid0(VALU_DEP_2) | instskip(SKIP_1) | instid1(VALU_DEP_3)
	v_cmp_lt_u16_e32 vcc_lo, v6, v9
	v_lshrrev_b32_e32 v9, 16, v0
	v_cndmask_b32_e32 v8, v2, v8, vcc_lo
	s_delay_alu instid0(VALU_DEP_2) | instskip(SKIP_2) | instid1(VALU_DEP_4)
	v_cmp_lt_u16_e64 s0, v9, v0
	v_perm_b32 v9, v6, v1, 0x5040100
	v_lshrrev_b32_e32 v2, 24, v2
	v_perm_b32 v7, 0, v8, 0xc0c0001
	s_delay_alu instid0(VALU_DEP_4) | instskip(NEXT) | instid1(VALU_DEP_4)
	v_cndmask_b32_e64 v10, v0, v10, s0
	v_cndmask_b32_e32 v9, v1, v9, vcc_lo
	s_delay_alu instid0(VALU_DEP_3) | instskip(NEXT) | instid1(VALU_DEP_2)
	v_and_or_b32 v7, 0xffff0000, v8, v7
	v_lshrrev_b32_e32 v11, 16, v9
	s_delay_alu instid0(VALU_DEP_2) | instskip(NEXT) | instid1(VALU_DEP_2)
	v_cndmask_b32_e64 v7, v8, v7, s0
	v_cmp_lt_u16_e64 s0, v11, v9
	s_delay_alu instid0(VALU_DEP_2) | instskip(NEXT) | instid1(VALU_DEP_2)
	v_lshrrev_b32_e32 v8, 16, v7
	v_alignbit_b32 v1, s0, v1, 16
	s_delay_alu instid0(VALU_DEP_2) | instskip(NEXT) | instid1(VALU_DEP_1)
	v_perm_b32 v8, 0, v8, 0xc0c0001
	v_lshlrev_b32_e32 v8, 16, v8
	s_delay_alu instid0(VALU_DEP_1) | instskip(NEXT) | instid1(VALU_DEP_1)
	v_and_or_b32 v8, 0xffff, v7, v8
	v_cndmask_b32_e64 v0, v7, v8, s0
	v_min_u16 v7, v11, v9
	v_lshrrev_b32_e32 v8, 16, v10
	s_delay_alu instid0(VALU_DEP_3) | instskip(NEXT) | instid1(VALU_DEP_2)
	v_perm_b32 v11, v0, v0, 0x7050604
	v_cmp_lt_u16_e64 s1, v7, v8
	v_cndmask_b32_e32 v8, v3, v2, vcc_lo
	v_alignbit_b32 v2, v9, v9, 16
	v_perm_b32 v7, v7, v10, 0x5040100
	s_delay_alu instid0(VALU_DEP_4) | instskip(NEXT) | instid1(VALU_DEP_4)
	v_cndmask_b32_e64 v0, v0, v11, s1
	v_lshlrev_b16 v11, 8, v8
	s_delay_alu instid0(VALU_DEP_4) | instskip(NEXT) | instid1(VALU_DEP_3)
	v_cndmask_b32_e64 v2, v9, v2, s0
	v_lshrrev_b32_e32 v3, 16, v0
	s_delay_alu instid0(VALU_DEP_2) | instskip(NEXT) | instid1(VALU_DEP_2)
	v_perm_b32 v9, v2, v10, 0x7060302
	v_and_b32_e32 v3, 0xff, v3
	s_delay_alu instid0(VALU_DEP_2) | instskip(NEXT) | instid1(VALU_DEP_2)
	v_cndmask_b32_e64 v2, v2, v9, s1
	v_or_b32_e32 v3, v3, v11
	s_delay_alu instid0(VALU_DEP_1) | instskip(SKIP_1) | instid1(VALU_DEP_2)
	v_lshlrev_b32_e32 v3, 16, v3
	v_and_b32_e32 v6, 0xffff, v6
	v_and_or_b32 v3, 0xffff, v0, v3
	s_delay_alu instid0(VALU_DEP_2) | instskip(SKIP_1) | instid1(VALU_DEP_1)
	v_cndmask_b32_e32 v6, v6, v1, vcc_lo
	v_lshrrev_b32_e32 v1, 16, v2
	v_cmp_lt_u16_e32 vcc_lo, v6, v1
	s_delay_alu instid0(VALU_DEP_4) | instskip(SKIP_1) | instid1(VALU_DEP_2)
	v_cndmask_b32_e32 v1, v0, v3, vcc_lo
	v_cndmask_b32_e64 v3, v10, v7, s1
	v_perm_b32 v7, 0, v1, 0xc0c0001
	s_delay_alu instid0(VALU_DEP_2) | instskip(NEXT) | instid1(VALU_DEP_2)
	v_lshrrev_b32_e32 v9, 16, v3
	v_and_or_b32 v7, 0xffff0000, v1, v7
	s_delay_alu instid0(VALU_DEP_2) | instskip(SKIP_1) | instid1(VALU_DEP_2)
	v_cmp_lt_u16_e64 s0, v9, v3
	v_perm_b32 v9, v6, v2, 0x5040100
	v_cndmask_b32_e64 v7, v1, v7, s0
	s_delay_alu instid0(VALU_DEP_2) | instskip(SKIP_1) | instid1(VALU_DEP_3)
	v_cndmask_b32_e32 v9, v2, v9, vcc_lo
	v_alignbit_b32 v2, s0, v2, 16
	v_lshrrev_b32_e32 v1, 16, v7
	s_delay_alu instid0(VALU_DEP_3) | instskip(SKIP_1) | instid1(VALU_DEP_4)
	v_lshrrev_b32_e32 v11, 16, v9
	v_alignbit_b32 v12, v9, v9, 16
	v_cndmask_b32_e32 v6, v6, v2, vcc_lo
	s_delay_alu instid0(VALU_DEP_4) | instskip(NEXT) | instid1(VALU_DEP_4)
	v_perm_b32 v1, 0, v1, 0xc0c0001
	v_cmp_lt_u16_e64 s1, v11, v9
	s_delay_alu instid0(VALU_DEP_2) | instskip(SKIP_2) | instid1(VALU_DEP_3)
	v_lshlrev_b32_e32 v10, 16, v1
	v_lshlrev_b64 v[0:1], 8, v[0:1]
	v_alignbit_b32 v0, v3, v3, 16
	v_and_or_b32 v10, 0xffff, v7, v10
	s_delay_alu instid0(VALU_DEP_3) | instskip(NEXT) | instid1(VALU_DEP_3)
	v_cndmask_b32_e32 v1, v8, v1, vcc_lo
	v_cndmask_b32_e64 v2, v3, v0, s0
	v_cndmask_b32_e64 v3, v9, v12, s1
	s_delay_alu instid0(VALU_DEP_4)
	v_cndmask_b32_e64 v0, v7, v10, s1
	s_clause 0x1
	global_store_b16 v5, v6, s[2:3] offset:8
	global_store_b64 v5, v[2:3], s[2:3]
	s_clause 0x1
	global_store_b8 v4, v1, s[4:5] offset:4
	global_store_b32 v4, v0, s[4:5]
	s_nop 0
	s_sendmsg sendmsg(MSG_DEALLOC_VGPRS)
	s_endpgm
	.section	.rodata,"a",@progbits
	.p2align	6, 0x0
	.amdhsa_kernel _Z16sort_keys_valuesILj256ELj5EtcN10test_utils4lessEEvPT1_PT2_T3_
		.amdhsa_group_segment_fixed_size 0
		.amdhsa_private_segment_fixed_size 0
		.amdhsa_kernarg_size 20
		.amdhsa_user_sgpr_count 15
		.amdhsa_user_sgpr_dispatch_ptr 0
		.amdhsa_user_sgpr_queue_ptr 0
		.amdhsa_user_sgpr_kernarg_segment_ptr 1
		.amdhsa_user_sgpr_dispatch_id 0
		.amdhsa_user_sgpr_private_segment_size 0
		.amdhsa_wavefront_size32 1
		.amdhsa_uses_dynamic_stack 0
		.amdhsa_enable_private_segment 0
		.amdhsa_system_sgpr_workgroup_id_x 1
		.amdhsa_system_sgpr_workgroup_id_y 0
		.amdhsa_system_sgpr_workgroup_id_z 0
		.amdhsa_system_sgpr_workgroup_info 0
		.amdhsa_system_vgpr_workitem_id 0
		.amdhsa_next_free_vgpr 13
		.amdhsa_next_free_sgpr 16
		.amdhsa_reserve_vcc 1
		.amdhsa_float_round_mode_32 0
		.amdhsa_float_round_mode_16_64 0
		.amdhsa_float_denorm_mode_32 3
		.amdhsa_float_denorm_mode_16_64 3
		.amdhsa_dx10_clamp 1
		.amdhsa_ieee_mode 1
		.amdhsa_fp16_overflow 0
		.amdhsa_workgroup_processor_mode 1
		.amdhsa_memory_ordered 1
		.amdhsa_forward_progress 0
		.amdhsa_shared_vgpr_count 0
		.amdhsa_exception_fp_ieee_invalid_op 0
		.amdhsa_exception_fp_denorm_src 0
		.amdhsa_exception_fp_ieee_div_zero 0
		.amdhsa_exception_fp_ieee_overflow 0
		.amdhsa_exception_fp_ieee_underflow 0
		.amdhsa_exception_fp_ieee_inexact 0
		.amdhsa_exception_int_div_zero 0
	.end_amdhsa_kernel
	.section	.text._Z16sort_keys_valuesILj256ELj5EtcN10test_utils4lessEEvPT1_PT2_T3_,"axG",@progbits,_Z16sort_keys_valuesILj256ELj5EtcN10test_utils4lessEEvPT1_PT2_T3_,comdat
.Lfunc_end24:
	.size	_Z16sort_keys_valuesILj256ELj5EtcN10test_utils4lessEEvPT1_PT2_T3_, .Lfunc_end24-_Z16sort_keys_valuesILj256ELj5EtcN10test_utils4lessEEvPT1_PT2_T3_
                                        ; -- End function
	.section	.AMDGPU.csdata,"",@progbits
; Kernel info:
; codeLenInByte = 1004
; NumSgprs: 18
; NumVgprs: 13
; ScratchSize: 0
; MemoryBound: 0
; FloatMode: 240
; IeeeMode: 1
; LDSByteSize: 0 bytes/workgroup (compile time only)
; SGPRBlocks: 2
; VGPRBlocks: 1
; NumSGPRsForWavesPerEU: 18
; NumVGPRsForWavesPerEU: 13
; Occupancy: 16
; WaveLimiterHint : 0
; COMPUTE_PGM_RSRC2:SCRATCH_EN: 0
; COMPUTE_PGM_RSRC2:USER_SGPR: 15
; COMPUTE_PGM_RSRC2:TRAP_HANDLER: 0
; COMPUTE_PGM_RSRC2:TGID_X_EN: 1
; COMPUTE_PGM_RSRC2:TGID_Y_EN: 0
; COMPUTE_PGM_RSRC2:TGID_Z_EN: 0
; COMPUTE_PGM_RSRC2:TIDIG_COMP_CNT: 0
	.section	.text._Z16sort_keys_valuesILj256ELj4EjiN10test_utils4lessEEvPT1_PT2_T3_,"axG",@progbits,_Z16sort_keys_valuesILj256ELj4EjiN10test_utils4lessEEvPT1_PT2_T3_,comdat
	.protected	_Z16sort_keys_valuesILj256ELj4EjiN10test_utils4lessEEvPT1_PT2_T3_ ; -- Begin function _Z16sort_keys_valuesILj256ELj4EjiN10test_utils4lessEEvPT1_PT2_T3_
	.globl	_Z16sort_keys_valuesILj256ELj4EjiN10test_utils4lessEEvPT1_PT2_T3_
	.p2align	8
	.type	_Z16sort_keys_valuesILj256ELj4EjiN10test_utils4lessEEvPT1_PT2_T3_,@function
_Z16sort_keys_valuesILj256ELj4EjiN10test_utils4lessEEvPT1_PT2_T3_: ; @_Z16sort_keys_valuesILj256ELj4EjiN10test_utils4lessEEvPT1_PT2_T3_
; %bb.0:
	s_load_b128 s[0:3], s[0:1], 0x0
	s_mov_b32 s5, 0
	s_lshl_b32 s4, s15, 10
	v_lshlrev_b32_e32 v8, 4, v0
	s_lshl_b64 s[4:5], s[4:5], 2
	s_waitcnt lgkmcnt(0)
	s_add_u32 s6, s0, s4
	s_addc_u32 s7, s1, s5
	s_add_u32 s2, s2, s4
	global_load_b128 v[0:3], v8, s[6:7]
	s_addc_u32 s3, s3, s5
	global_load_b128 v[4:7], v8, s[2:3]
	s_waitcnt vmcnt(1)
	v_cmp_lt_u32_e32 vcc_lo, v1, v0
	v_min_u32_e32 v9, v3, v2
	v_cmp_lt_u32_e64 s0, v3, v2
	s_waitcnt vmcnt(0)
	v_dual_cndmask_b32 v10, v4, v5 :: v_dual_cndmask_b32 v11, v1, v0
	s_delay_alu instid0(VALU_DEP_2) | instskip(SKIP_2) | instid1(VALU_DEP_4)
	v_cndmask_b32_e64 v12, v7, v6, s0
	v_dual_cndmask_b32 v4, v5, v4 :: v_dual_cndmask_b32 v1, v0, v1
	v_cndmask_b32_e64 v0, v6, v7, s0
	v_cmp_lt_u32_e32 vcc_lo, v9, v11
	v_cndmask_b32_e64 v5, v2, v3, s0
	v_min_u32_e32 v6, v9, v11
	v_cndmask_b32_e64 v2, v3, v2, s0
	v_cndmask_b32_e32 v7, v0, v4, vcc_lo
	v_cndmask_b32_e32 v3, v4, v0, vcc_lo
	v_dual_cndmask_b32 v5, v5, v11 :: v_dual_cndmask_b32 v4, v11, v9
	v_cmp_lt_u32_e32 vcc_lo, v6, v1
	s_delay_alu instid0(VALU_DEP_2) | instskip(NEXT) | instid1(VALU_DEP_4)
	v_dual_cndmask_b32 v9, v4, v1 :: v_dual_cndmask_b32 v4, v1, v6
	v_cndmask_b32_e32 v0, v10, v3, vcc_lo
	v_cndmask_b32_e32 v10, v3, v10, vcc_lo
	v_cmp_lt_u32_e64 s0, v2, v5
	v_min_u32_e32 v11, v2, v5
	s_delay_alu instid0(VALU_DEP_2) | instskip(NEXT) | instid1(VALU_DEP_2)
	v_cndmask_b32_e64 v13, v5, v2, s0
	v_cmp_lt_u32_e64 s1, v11, v9
	v_cndmask_b32_e64 v3, v12, v7, s0
	v_cndmask_b32_e64 v12, v7, v12, s0
	;; [unrolled: 1-line block ×3, first 2 shown]
	s_delay_alu instid0(VALU_DEP_4) | instskip(SKIP_1) | instid1(VALU_DEP_4)
	v_cndmask_b32_e64 v6, v13, v9, s1
	v_cndmask_b32_e64 v5, v9, v11, s1
	;; [unrolled: 1-line block ×4, first 2 shown]
	s_clause 0x1
	global_store_b128 v8, v[4:7], s[6:7]
	global_store_b128 v8, v[0:3], s[2:3]
	s_nop 0
	s_sendmsg sendmsg(MSG_DEALLOC_VGPRS)
	s_endpgm
	.section	.rodata,"a",@progbits
	.p2align	6, 0x0
	.amdhsa_kernel _Z16sort_keys_valuesILj256ELj4EjiN10test_utils4lessEEvPT1_PT2_T3_
		.amdhsa_group_segment_fixed_size 0
		.amdhsa_private_segment_fixed_size 0
		.amdhsa_kernarg_size 20
		.amdhsa_user_sgpr_count 15
		.amdhsa_user_sgpr_dispatch_ptr 0
		.amdhsa_user_sgpr_queue_ptr 0
		.amdhsa_user_sgpr_kernarg_segment_ptr 1
		.amdhsa_user_sgpr_dispatch_id 0
		.amdhsa_user_sgpr_private_segment_size 0
		.amdhsa_wavefront_size32 1
		.amdhsa_uses_dynamic_stack 0
		.amdhsa_enable_private_segment 0
		.amdhsa_system_sgpr_workgroup_id_x 1
		.amdhsa_system_sgpr_workgroup_id_y 0
		.amdhsa_system_sgpr_workgroup_id_z 0
		.amdhsa_system_sgpr_workgroup_info 0
		.amdhsa_system_vgpr_workitem_id 0
		.amdhsa_next_free_vgpr 14
		.amdhsa_next_free_sgpr 16
		.amdhsa_reserve_vcc 1
		.amdhsa_float_round_mode_32 0
		.amdhsa_float_round_mode_16_64 0
		.amdhsa_float_denorm_mode_32 3
		.amdhsa_float_denorm_mode_16_64 3
		.amdhsa_dx10_clamp 1
		.amdhsa_ieee_mode 1
		.amdhsa_fp16_overflow 0
		.amdhsa_workgroup_processor_mode 1
		.amdhsa_memory_ordered 1
		.amdhsa_forward_progress 0
		.amdhsa_shared_vgpr_count 0
		.amdhsa_exception_fp_ieee_invalid_op 0
		.amdhsa_exception_fp_denorm_src 0
		.amdhsa_exception_fp_ieee_div_zero 0
		.amdhsa_exception_fp_ieee_overflow 0
		.amdhsa_exception_fp_ieee_underflow 0
		.amdhsa_exception_fp_ieee_inexact 0
		.amdhsa_exception_int_div_zero 0
	.end_amdhsa_kernel
	.section	.text._Z16sort_keys_valuesILj256ELj4EjiN10test_utils4lessEEvPT1_PT2_T3_,"axG",@progbits,_Z16sort_keys_valuesILj256ELj4EjiN10test_utils4lessEEvPT1_PT2_T3_,comdat
.Lfunc_end25:
	.size	_Z16sort_keys_valuesILj256ELj4EjiN10test_utils4lessEEvPT1_PT2_T3_, .Lfunc_end25-_Z16sort_keys_valuesILj256ELj4EjiN10test_utils4lessEEvPT1_PT2_T3_
                                        ; -- End function
	.section	.AMDGPU.csdata,"",@progbits
; Kernel info:
; codeLenInByte = 308
; NumSgprs: 18
; NumVgprs: 14
; ScratchSize: 0
; MemoryBound: 0
; FloatMode: 240
; IeeeMode: 1
; LDSByteSize: 0 bytes/workgroup (compile time only)
; SGPRBlocks: 2
; VGPRBlocks: 1
; NumSGPRsForWavesPerEU: 18
; NumVGPRsForWavesPerEU: 14
; Occupancy: 16
; WaveLimiterHint : 0
; COMPUTE_PGM_RSRC2:SCRATCH_EN: 0
; COMPUTE_PGM_RSRC2:USER_SGPR: 15
; COMPUTE_PGM_RSRC2:TRAP_HANDLER: 0
; COMPUTE_PGM_RSRC2:TGID_X_EN: 1
; COMPUTE_PGM_RSRC2:TGID_Y_EN: 0
; COMPUTE_PGM_RSRC2:TGID_Z_EN: 0
; COMPUTE_PGM_RSRC2:TIDIG_COMP_CNT: 0
	.section	.text._Z16sort_keys_valuesILj256ELj3EiiN10test_utils4lessEEvPT1_PT2_T3_,"axG",@progbits,_Z16sort_keys_valuesILj256ELj3EiiN10test_utils4lessEEvPT1_PT2_T3_,comdat
	.protected	_Z16sort_keys_valuesILj256ELj3EiiN10test_utils4lessEEvPT1_PT2_T3_ ; -- Begin function _Z16sort_keys_valuesILj256ELj3EiiN10test_utils4lessEEvPT1_PT2_T3_
	.globl	_Z16sort_keys_valuesILj256ELj3EiiN10test_utils4lessEEvPT1_PT2_T3_
	.p2align	8
	.type	_Z16sort_keys_valuesILj256ELj3EiiN10test_utils4lessEEvPT1_PT2_T3_,@function
_Z16sort_keys_valuesILj256ELj3EiiN10test_utils4lessEEvPT1_PT2_T3_: ; @_Z16sort_keys_valuesILj256ELj3EiiN10test_utils4lessEEvPT1_PT2_T3_
; %bb.0:
	s_load_b128 s[0:3], s[0:1], 0x0
	v_mul_u32_u24_e32 v0, 3, v0
	s_mov_b32 s5, 0
	s_mul_i32 s4, s15, 0x300
	s_delay_alu instid0(SALU_CYCLE_1) | instskip(NEXT) | instid1(VALU_DEP_1)
	s_lshl_b64 s[4:5], s[4:5], 2
	v_lshlrev_b32_e32 v7, 2, v0
	s_waitcnt lgkmcnt(0)
	s_add_u32 s6, s0, s4
	s_addc_u32 s7, s1, s5
	s_add_u32 s2, s2, s4
	global_load_b96 v[0:2], v7, s[6:7]
	s_addc_u32 s3, s3, s5
	global_load_b96 v[3:5], v7, s[2:3]
	s_waitcnt vmcnt(1)
	v_cmp_lt_i32_e32 vcc_lo, v1, v0
	v_max_i32_e32 v6, v1, v0
	s_waitcnt vmcnt(0)
	v_dual_cndmask_b32 v8, v3, v4 :: v_dual_cndmask_b32 v9, v0, v1
	v_cndmask_b32_e32 v4, v4, v3, vcc_lo
	s_delay_alu instid0(VALU_DEP_3) | instskip(NEXT) | instid1(VALU_DEP_1)
	v_cmp_lt_i32_e64 s0, v2, v6
	v_cndmask_b32_e64 v10, v4, v5, s0
	v_cndmask_b32_e32 v0, v1, v0, vcc_lo
	v_min_i32_e32 v1, v2, v6
	v_cndmask_b32_e64 v3, v5, v4, s0
	v_cndmask_b32_e64 v6, v2, v6, s0
	s_delay_alu instid0(VALU_DEP_3) | instskip(SKIP_2) | instid1(VALU_DEP_1)
	v_cmp_lt_i32_e32 vcc_lo, v1, v9
	v_dual_cndmask_b32 v4, v9, v1 :: v_dual_cndmask_b32 v1, v8, v10
	v_cndmask_b32_e64 v0, v0, v2, s0
	v_dual_cndmask_b32 v2, v10, v8 :: v_dual_cndmask_b32 v5, v0, v9
	s_clause 0x1
	global_store_b96 v7, v[4:6], s[6:7]
	global_store_b96 v7, v[1:3], s[2:3]
	s_nop 0
	s_sendmsg sendmsg(MSG_DEALLOC_VGPRS)
	s_endpgm
	.section	.rodata,"a",@progbits
	.p2align	6, 0x0
	.amdhsa_kernel _Z16sort_keys_valuesILj256ELj3EiiN10test_utils4lessEEvPT1_PT2_T3_
		.amdhsa_group_segment_fixed_size 0
		.amdhsa_private_segment_fixed_size 0
		.amdhsa_kernarg_size 20
		.amdhsa_user_sgpr_count 15
		.amdhsa_user_sgpr_dispatch_ptr 0
		.amdhsa_user_sgpr_queue_ptr 0
		.amdhsa_user_sgpr_kernarg_segment_ptr 1
		.amdhsa_user_sgpr_dispatch_id 0
		.amdhsa_user_sgpr_private_segment_size 0
		.amdhsa_wavefront_size32 1
		.amdhsa_uses_dynamic_stack 0
		.amdhsa_enable_private_segment 0
		.amdhsa_system_sgpr_workgroup_id_x 1
		.amdhsa_system_sgpr_workgroup_id_y 0
		.amdhsa_system_sgpr_workgroup_id_z 0
		.amdhsa_system_sgpr_workgroup_info 0
		.amdhsa_system_vgpr_workitem_id 0
		.amdhsa_next_free_vgpr 11
		.amdhsa_next_free_sgpr 16
		.amdhsa_reserve_vcc 1
		.amdhsa_float_round_mode_32 0
		.amdhsa_float_round_mode_16_64 0
		.amdhsa_float_denorm_mode_32 3
		.amdhsa_float_denorm_mode_16_64 3
		.amdhsa_dx10_clamp 1
		.amdhsa_ieee_mode 1
		.amdhsa_fp16_overflow 0
		.amdhsa_workgroup_processor_mode 1
		.amdhsa_memory_ordered 1
		.amdhsa_forward_progress 0
		.amdhsa_shared_vgpr_count 0
		.amdhsa_exception_fp_ieee_invalid_op 0
		.amdhsa_exception_fp_denorm_src 0
		.amdhsa_exception_fp_ieee_div_zero 0
		.amdhsa_exception_fp_ieee_overflow 0
		.amdhsa_exception_fp_ieee_underflow 0
		.amdhsa_exception_fp_ieee_inexact 0
		.amdhsa_exception_int_div_zero 0
	.end_amdhsa_kernel
	.section	.text._Z16sort_keys_valuesILj256ELj3EiiN10test_utils4lessEEvPT1_PT2_T3_,"axG",@progbits,_Z16sort_keys_valuesILj256ELj3EiiN10test_utils4lessEEvPT1_PT2_T3_,comdat
.Lfunc_end26:
	.size	_Z16sort_keys_valuesILj256ELj3EiiN10test_utils4lessEEvPT1_PT2_T3_, .Lfunc_end26-_Z16sort_keys_valuesILj256ELj3EiiN10test_utils4lessEEvPT1_PT2_T3_
                                        ; -- End function
	.section	.AMDGPU.csdata,"",@progbits
; Kernel info:
; codeLenInByte = 208
; NumSgprs: 18
; NumVgprs: 11
; ScratchSize: 0
; MemoryBound: 0
; FloatMode: 240
; IeeeMode: 1
; LDSByteSize: 0 bytes/workgroup (compile time only)
; SGPRBlocks: 2
; VGPRBlocks: 1
; NumSGPRsForWavesPerEU: 18
; NumVGPRsForWavesPerEU: 11
; Occupancy: 16
; WaveLimiterHint : 0
; COMPUTE_PGM_RSRC2:SCRATCH_EN: 0
; COMPUTE_PGM_RSRC2:USER_SGPR: 15
; COMPUTE_PGM_RSRC2:TRAP_HANDLER: 0
; COMPUTE_PGM_RSRC2:TGID_X_EN: 1
; COMPUTE_PGM_RSRC2:TGID_Y_EN: 0
; COMPUTE_PGM_RSRC2:TGID_Z_EN: 0
; COMPUTE_PGM_RSRC2:TIDIG_COMP_CNT: 0
	.section	.text._Z16sort_keys_valuesILj256ELj2EjiN10test_utils4lessEEvPT1_PT2_T3_,"axG",@progbits,_Z16sort_keys_valuesILj256ELj2EjiN10test_utils4lessEEvPT1_PT2_T3_,comdat
	.protected	_Z16sort_keys_valuesILj256ELj2EjiN10test_utils4lessEEvPT1_PT2_T3_ ; -- Begin function _Z16sort_keys_valuesILj256ELj2EjiN10test_utils4lessEEvPT1_PT2_T3_
	.globl	_Z16sort_keys_valuesILj256ELj2EjiN10test_utils4lessEEvPT1_PT2_T3_
	.p2align	8
	.type	_Z16sort_keys_valuesILj256ELj2EjiN10test_utils4lessEEvPT1_PT2_T3_,@function
_Z16sort_keys_valuesILj256ELj2EjiN10test_utils4lessEEvPT1_PT2_T3_: ; @_Z16sort_keys_valuesILj256ELj2EjiN10test_utils4lessEEvPT1_PT2_T3_
; %bb.0:
	s_load_b128 s[0:3], s[0:1], 0x0
	s_mov_b32 s5, 0
	s_lshl_b32 s4, s15, 9
	v_lshlrev_b32_e32 v7, 3, v0
	s_lshl_b64 s[4:5], s[4:5], 2
	s_waitcnt lgkmcnt(0)
	s_add_u32 s0, s0, s4
	s_addc_u32 s1, s1, s5
	s_add_u32 s2, s2, s4
	global_load_b64 v[0:1], v7, s[0:1]
	s_addc_u32 s3, s3, s5
	global_load_b64 v[2:3], v7, s[2:3]
	s_waitcnt vmcnt(1)
	v_cmp_lt_u32_e32 vcc_lo, v1, v0
	v_dual_cndmask_b32 v6, v1, v0 :: v_dual_cndmask_b32 v5, v0, v1
	s_waitcnt vmcnt(0)
	v_dual_cndmask_b32 v4, v3, v2 :: v_dual_cndmask_b32 v3, v2, v3
	s_clause 0x1
	global_store_b64 v7, v[5:6], s[0:1]
	global_store_b64 v7, v[3:4], s[2:3]
	s_nop 0
	s_sendmsg sendmsg(MSG_DEALLOC_VGPRS)
	s_endpgm
	.section	.rodata,"a",@progbits
	.p2align	6, 0x0
	.amdhsa_kernel _Z16sort_keys_valuesILj256ELj2EjiN10test_utils4lessEEvPT1_PT2_T3_
		.amdhsa_group_segment_fixed_size 0
		.amdhsa_private_segment_fixed_size 0
		.amdhsa_kernarg_size 20
		.amdhsa_user_sgpr_count 15
		.amdhsa_user_sgpr_dispatch_ptr 0
		.amdhsa_user_sgpr_queue_ptr 0
		.amdhsa_user_sgpr_kernarg_segment_ptr 1
		.amdhsa_user_sgpr_dispatch_id 0
		.amdhsa_user_sgpr_private_segment_size 0
		.amdhsa_wavefront_size32 1
		.amdhsa_uses_dynamic_stack 0
		.amdhsa_enable_private_segment 0
		.amdhsa_system_sgpr_workgroup_id_x 1
		.amdhsa_system_sgpr_workgroup_id_y 0
		.amdhsa_system_sgpr_workgroup_id_z 0
		.amdhsa_system_sgpr_workgroup_info 0
		.amdhsa_system_vgpr_workitem_id 0
		.amdhsa_next_free_vgpr 8
		.amdhsa_next_free_sgpr 16
		.amdhsa_reserve_vcc 1
		.amdhsa_float_round_mode_32 0
		.amdhsa_float_round_mode_16_64 0
		.amdhsa_float_denorm_mode_32 3
		.amdhsa_float_denorm_mode_16_64 3
		.amdhsa_dx10_clamp 1
		.amdhsa_ieee_mode 1
		.amdhsa_fp16_overflow 0
		.amdhsa_workgroup_processor_mode 1
		.amdhsa_memory_ordered 1
		.amdhsa_forward_progress 0
		.amdhsa_shared_vgpr_count 0
		.amdhsa_exception_fp_ieee_invalid_op 0
		.amdhsa_exception_fp_denorm_src 0
		.amdhsa_exception_fp_ieee_div_zero 0
		.amdhsa_exception_fp_ieee_overflow 0
		.amdhsa_exception_fp_ieee_underflow 0
		.amdhsa_exception_fp_ieee_inexact 0
		.amdhsa_exception_int_div_zero 0
	.end_amdhsa_kernel
	.section	.text._Z16sort_keys_valuesILj256ELj2EjiN10test_utils4lessEEvPT1_PT2_T3_,"axG",@progbits,_Z16sort_keys_valuesILj256ELj2EjiN10test_utils4lessEEvPT1_PT2_T3_,comdat
.Lfunc_end27:
	.size	_Z16sort_keys_valuesILj256ELj2EjiN10test_utils4lessEEvPT1_PT2_T3_, .Lfunc_end27-_Z16sort_keys_valuesILj256ELj2EjiN10test_utils4lessEEvPT1_PT2_T3_
                                        ; -- End function
	.section	.AMDGPU.csdata,"",@progbits
; Kernel info:
; codeLenInByte = 120
; NumSgprs: 18
; NumVgprs: 8
; ScratchSize: 0
; MemoryBound: 0
; FloatMode: 240
; IeeeMode: 1
; LDSByteSize: 0 bytes/workgroup (compile time only)
; SGPRBlocks: 2
; VGPRBlocks: 0
; NumSGPRsForWavesPerEU: 18
; NumVGPRsForWavesPerEU: 8
; Occupancy: 16
; WaveLimiterHint : 0
; COMPUTE_PGM_RSRC2:SCRATCH_EN: 0
; COMPUTE_PGM_RSRC2:USER_SGPR: 15
; COMPUTE_PGM_RSRC2:TRAP_HANDLER: 0
; COMPUTE_PGM_RSRC2:TGID_X_EN: 1
; COMPUTE_PGM_RSRC2:TGID_Y_EN: 0
; COMPUTE_PGM_RSRC2:TGID_Z_EN: 0
; COMPUTE_PGM_RSRC2:TIDIG_COMP_CNT: 0
	.section	.text._Z16sort_keys_valuesILj256ELj1EiiN10test_utils4lessEEvPT1_PT2_T3_,"axG",@progbits,_Z16sort_keys_valuesILj256ELj1EiiN10test_utils4lessEEvPT1_PT2_T3_,comdat
	.protected	_Z16sort_keys_valuesILj256ELj1EiiN10test_utils4lessEEvPT1_PT2_T3_ ; -- Begin function _Z16sort_keys_valuesILj256ELj1EiiN10test_utils4lessEEvPT1_PT2_T3_
	.globl	_Z16sort_keys_valuesILj256ELj1EiiN10test_utils4lessEEvPT1_PT2_T3_
	.p2align	8
	.type	_Z16sort_keys_valuesILj256ELj1EiiN10test_utils4lessEEvPT1_PT2_T3_,@function
_Z16sort_keys_valuesILj256ELj1EiiN10test_utils4lessEEvPT1_PT2_T3_: ; @_Z16sort_keys_valuesILj256ELj1EiiN10test_utils4lessEEvPT1_PT2_T3_
; %bb.0:
	s_endpgm
	.section	.rodata,"a",@progbits
	.p2align	6, 0x0
	.amdhsa_kernel _Z16sort_keys_valuesILj256ELj1EiiN10test_utils4lessEEvPT1_PT2_T3_
		.amdhsa_group_segment_fixed_size 0
		.amdhsa_private_segment_fixed_size 0
		.amdhsa_kernarg_size 20
		.amdhsa_user_sgpr_count 15
		.amdhsa_user_sgpr_dispatch_ptr 0
		.amdhsa_user_sgpr_queue_ptr 0
		.amdhsa_user_sgpr_kernarg_segment_ptr 1
		.amdhsa_user_sgpr_dispatch_id 0
		.amdhsa_user_sgpr_private_segment_size 0
		.amdhsa_wavefront_size32 1
		.amdhsa_uses_dynamic_stack 0
		.amdhsa_enable_private_segment 0
		.amdhsa_system_sgpr_workgroup_id_x 1
		.amdhsa_system_sgpr_workgroup_id_y 0
		.amdhsa_system_sgpr_workgroup_id_z 0
		.amdhsa_system_sgpr_workgroup_info 0
		.amdhsa_system_vgpr_workitem_id 0
		.amdhsa_next_free_vgpr 1
		.amdhsa_next_free_sgpr 1
		.amdhsa_reserve_vcc 0
		.amdhsa_float_round_mode_32 0
		.amdhsa_float_round_mode_16_64 0
		.amdhsa_float_denorm_mode_32 3
		.amdhsa_float_denorm_mode_16_64 3
		.amdhsa_dx10_clamp 1
		.amdhsa_ieee_mode 1
		.amdhsa_fp16_overflow 0
		.amdhsa_workgroup_processor_mode 1
		.amdhsa_memory_ordered 1
		.amdhsa_forward_progress 0
		.amdhsa_shared_vgpr_count 0
		.amdhsa_exception_fp_ieee_invalid_op 0
		.amdhsa_exception_fp_denorm_src 0
		.amdhsa_exception_fp_ieee_div_zero 0
		.amdhsa_exception_fp_ieee_overflow 0
		.amdhsa_exception_fp_ieee_underflow 0
		.amdhsa_exception_fp_ieee_inexact 0
		.amdhsa_exception_int_div_zero 0
	.end_amdhsa_kernel
	.section	.text._Z16sort_keys_valuesILj256ELj1EiiN10test_utils4lessEEvPT1_PT2_T3_,"axG",@progbits,_Z16sort_keys_valuesILj256ELj1EiiN10test_utils4lessEEvPT1_PT2_T3_,comdat
.Lfunc_end28:
	.size	_Z16sort_keys_valuesILj256ELj1EiiN10test_utils4lessEEvPT1_PT2_T3_, .Lfunc_end28-_Z16sort_keys_valuesILj256ELj1EiiN10test_utils4lessEEvPT1_PT2_T3_
                                        ; -- End function
	.section	.AMDGPU.csdata,"",@progbits
; Kernel info:
; codeLenInByte = 4
; NumSgprs: 0
; NumVgprs: 0
; ScratchSize: 0
; MemoryBound: 0
; FloatMode: 240
; IeeeMode: 1
; LDSByteSize: 0 bytes/workgroup (compile time only)
; SGPRBlocks: 0
; VGPRBlocks: 0
; NumSGPRsForWavesPerEU: 1
; NumVGPRsForWavesPerEU: 1
; Occupancy: 16
; WaveLimiterHint : 0
; COMPUTE_PGM_RSRC2:SCRATCH_EN: 0
; COMPUTE_PGM_RSRC2:USER_SGPR: 15
; COMPUTE_PGM_RSRC2:TRAP_HANDLER: 0
; COMPUTE_PGM_RSRC2:TGID_X_EN: 1
; COMPUTE_PGM_RSRC2:TGID_Y_EN: 0
; COMPUTE_PGM_RSRC2:TGID_Z_EN: 0
; COMPUTE_PGM_RSRC2:TIDIG_COMP_CNT: 0
	.text
	.p2alignl 7, 3214868480
	.fill 96, 4, 3214868480
	.type	__hip_cuid_97c8235957e6ae09,@object ; @__hip_cuid_97c8235957e6ae09
	.section	.bss,"aw",@nobits
	.globl	__hip_cuid_97c8235957e6ae09
__hip_cuid_97c8235957e6ae09:
	.byte	0                               ; 0x0
	.size	__hip_cuid_97c8235957e6ae09, 1

	.ident	"AMD clang version 19.0.0git (https://github.com/RadeonOpenCompute/llvm-project roc-6.4.0 25133 c7fe45cf4b819c5991fe208aaa96edf142730f1d)"
	.section	".note.GNU-stack","",@progbits
	.addrsig
	.addrsig_sym __hip_cuid_97c8235957e6ae09
	.amdgpu_metadata
---
amdhsa.kernels:
  - .args:
      - .address_space:  global
        .offset:         0
        .size:           8
        .value_kind:     global_buffer
      - .offset:         8
        .size:           1
        .value_kind:     by_value
    .group_segment_fixed_size: 0
    .kernarg_segment_align: 8
    .kernarg_segment_size: 12
    .language:       OpenCL C
    .language_version:
      - 2
      - 0
    .max_flat_workgroup_size: 256
    .name:           _Z9sort_keysILj256ELj7E12hip_bfloat16N10test_utils4lessEEvPT1_T2_
    .private_segment_fixed_size: 0
    .sgpr_count:     18
    .sgpr_spill_count: 0
    .symbol:         _Z9sort_keysILj256ELj7E12hip_bfloat16N10test_utils4lessEEvPT1_T2_.kd
    .uniform_work_group_size: 1
    .uses_dynamic_stack: false
    .vgpr_count:     15
    .vgpr_spill_count: 0
    .wavefront_size: 32
    .workgroup_processor_mode: 1
  - .args:
      - .address_space:  global
        .offset:         0
        .size:           8
        .value_kind:     global_buffer
      - .offset:         8
        .size:           1
        .value_kind:     by_value
    .group_segment_fixed_size: 0
    .kernarg_segment_align: 8
    .kernarg_segment_size: 12
    .language:       OpenCL C
    .language_version:
      - 2
      - 0
    .max_flat_workgroup_size: 256
    .name:           _Z9sort_keysILj256ELj6E6__halfN10test_utils4lessEEvPT1_T2_
    .private_segment_fixed_size: 0
    .sgpr_count:     18
    .sgpr_spill_count: 0
    .symbol:         _Z9sort_keysILj256ELj6E6__halfN10test_utils4lessEEvPT1_T2_.kd
    .uniform_work_group_size: 1
    .uses_dynamic_stack: false
    .vgpr_count:     16
    .vgpr_spill_count: 0
    .wavefront_size: 32
    .workgroup_processor_mode: 1
  - .args:
      - .address_space:  global
        .offset:         0
        .size:           8
        .value_kind:     global_buffer
      - .offset:         8
        .size:           1
        .value_kind:     by_value
    .group_segment_fixed_size: 0
    .kernarg_segment_align: 8
    .kernarg_segment_size: 12
    .language:       OpenCL C
    .language_version:
      - 2
      - 0
    .max_flat_workgroup_size: 256
    .name:           _Z9sort_keysILj256ELj4EN10test_utils16custom_test_typeIiEENS0_4lessEEvPT1_T2_
    .private_segment_fixed_size: 0
    .sgpr_count:     18
    .sgpr_spill_count: 0
    .symbol:         _Z9sort_keysILj256ELj4EN10test_utils16custom_test_typeIiEENS0_4lessEEvPT1_T2_.kd
    .uniform_work_group_size: 1
    .uses_dynamic_stack: false
    .vgpr_count:     17
    .vgpr_spill_count: 0
    .wavefront_size: 32
    .workgroup_processor_mode: 1
  - .args:
      - .address_space:  global
        .offset:         0
        .size:           8
        .value_kind:     global_buffer
      - .offset:         8
        .size:           1
        .value_kind:     by_value
    .group_segment_fixed_size: 0
    .kernarg_segment_align: 8
    .kernarg_segment_size: 12
    .language:       OpenCL C
    .language_version:
      - 2
      - 0
    .max_flat_workgroup_size: 256
    .name:           _Z9sort_keysILj256ELj11EdN10test_utils4lessEEvPT1_T2_
    .private_segment_fixed_size: 0
    .sgpr_count:     18
    .sgpr_spill_count: 0
    .symbol:         _Z9sort_keysILj256ELj11EdN10test_utils4lessEEvPT1_T2_.kd
    .uniform_work_group_size: 1
    .uses_dynamic_stack: false
    .vgpr_count:     39
    .vgpr_spill_count: 0
    .wavefront_size: 32
    .workgroup_processor_mode: 1
  - .args:
      - .address_space:  global
        .offset:         0
        .size:           8
        .value_kind:     global_buffer
      - .offset:         8
        .size:           1
        .value_kind:     by_value
    .group_segment_fixed_size: 0
    .kernarg_segment_align: 8
    .kernarg_segment_size: 12
    .language:       OpenCL C
    .language_version:
      - 2
      - 0
    .max_flat_workgroup_size: 256
    .name:           _Z9sort_keysILj256ELj10EhN10test_utils4lessEEvPT1_T2_
    .private_segment_fixed_size: 0
    .sgpr_count:     18
    .sgpr_spill_count: 0
    .symbol:         _Z9sort_keysILj256ELj10EhN10test_utils4lessEEvPT1_T2_.kd
    .uniform_work_group_size: 1
    .uses_dynamic_stack: false
    .vgpr_count:     26
    .vgpr_spill_count: 0
    .wavefront_size: 32
    .workgroup_processor_mode: 1
  - .args:
      - .address_space:  global
        .offset:         0
        .size:           8
        .value_kind:     global_buffer
      - .offset:         8
        .size:           1
        .value_kind:     by_value
    .group_segment_fixed_size: 0
    .kernarg_segment_align: 8
    .kernarg_segment_size: 12
    .language:       OpenCL C
    .language_version:
      - 2
      - 0
    .max_flat_workgroup_size: 256
    .name:           _Z9sort_keysILj256ELj9EyN10test_utils4lessEEvPT1_T2_
    .private_segment_fixed_size: 0
    .sgpr_count:     18
    .sgpr_spill_count: 0
    .symbol:         _Z9sort_keysILj256ELj9EyN10test_utils4lessEEvPT1_T2_.kd
    .uniform_work_group_size: 1
    .uses_dynamic_stack: false
    .vgpr_count:     45
    .vgpr_spill_count: 0
    .wavefront_size: 32
    .workgroup_processor_mode: 1
  - .args:
      - .address_space:  global
        .offset:         0
        .size:           8
        .value_kind:     global_buffer
      - .offset:         8
        .size:           1
        .value_kind:     by_value
    .group_segment_fixed_size: 0
    .kernarg_segment_align: 8
    .kernarg_segment_size: 12
    .language:       OpenCL C
    .language_version:
      - 2
      - 0
    .max_flat_workgroup_size: 256
    .name:           _Z9sort_keysILj256ELj8EtN10test_utils4lessEEvPT1_T2_
    .private_segment_fixed_size: 0
    .sgpr_count:     18
    .sgpr_spill_count: 0
    .symbol:         _Z9sort_keysILj256ELj8EtN10test_utils4lessEEvPT1_T2_.kd
    .uniform_work_group_size: 1
    .uses_dynamic_stack: false
    .vgpr_count:     30
    .vgpr_spill_count: 0
    .wavefront_size: 32
    .workgroup_processor_mode: 1
  - .args:
      - .address_space:  global
        .offset:         0
        .size:           8
        .value_kind:     global_buffer
      - .offset:         8
        .size:           1
        .value_kind:     by_value
    .group_segment_fixed_size: 0
    .kernarg_segment_align: 8
    .kernarg_segment_size: 12
    .language:       OpenCL C
    .language_version:
      - 2
      - 0
    .max_flat_workgroup_size: 256
    .name:           _Z9sort_keysILj256ELj7EiN10test_utils4lessEEvPT1_T2_
    .private_segment_fixed_size: 0
    .sgpr_count:     18
    .sgpr_spill_count: 0
    .symbol:         _Z9sort_keysILj256ELj7EiN10test_utils4lessEEvPT1_T2_.kd
    .uniform_work_group_size: 1
    .uses_dynamic_stack: false
    .vgpr_count:     21
    .vgpr_spill_count: 0
    .wavefront_size: 32
    .workgroup_processor_mode: 1
  - .args:
      - .address_space:  global
        .offset:         0
        .size:           8
        .value_kind:     global_buffer
      - .offset:         8
        .size:           1
        .value_kind:     by_value
    .group_segment_fixed_size: 0
    .kernarg_segment_align: 8
    .kernarg_segment_size: 12
    .language:       OpenCL C
    .language_version:
      - 2
      - 0
    .max_flat_workgroup_size: 256
    .name:           _Z9sort_keysILj256ELj6EfN10test_utils7greaterEEvPT1_T2_
    .private_segment_fixed_size: 0
    .sgpr_count:     18
    .sgpr_spill_count: 0
    .symbol:         _Z9sort_keysILj256ELj6EfN10test_utils7greaterEEvPT1_T2_.kd
    .uniform_work_group_size: 1
    .uses_dynamic_stack: false
    .vgpr_count:     10
    .vgpr_spill_count: 0
    .wavefront_size: 32
    .workgroup_processor_mode: 1
  - .args:
      - .address_space:  global
        .offset:         0
        .size:           8
        .value_kind:     global_buffer
      - .offset:         8
        .size:           1
        .value_kind:     by_value
    .group_segment_fixed_size: 0
    .kernarg_segment_align: 8
    .kernarg_segment_size: 12
    .language:       OpenCL C
    .language_version:
      - 2
      - 0
    .max_flat_workgroup_size: 256
    .name:           _Z9sort_keysILj256ELj5EtN10test_utils4lessEEvPT1_T2_
    .private_segment_fixed_size: 0
    .sgpr_count:     18
    .sgpr_spill_count: 0
    .symbol:         _Z9sort_keysILj256ELj5EtN10test_utils4lessEEvPT1_T2_.kd
    .uniform_work_group_size: 1
    .uses_dynamic_stack: false
    .vgpr_count:     13
    .vgpr_spill_count: 0
    .wavefront_size: 32
    .workgroup_processor_mode: 1
  - .args:
      - .address_space:  global
        .offset:         0
        .size:           8
        .value_kind:     global_buffer
      - .offset:         8
        .size:           1
        .value_kind:     by_value
    .group_segment_fixed_size: 0
    .kernarg_segment_align: 8
    .kernarg_segment_size: 12
    .language:       OpenCL C
    .language_version:
      - 2
      - 0
    .max_flat_workgroup_size: 256
    .name:           _Z9sort_keysILj256ELj4EjN10test_utils4lessEEvPT1_T2_
    .private_segment_fixed_size: 0
    .sgpr_count:     18
    .sgpr_spill_count: 0
    .symbol:         _Z9sort_keysILj256ELj4EjN10test_utils4lessEEvPT1_T2_.kd
    .uniform_work_group_size: 1
    .uses_dynamic_stack: false
    .vgpr_count:     11
    .vgpr_spill_count: 0
    .wavefront_size: 32
    .workgroup_processor_mode: 1
  - .args:
      - .address_space:  global
        .offset:         0
        .size:           8
        .value_kind:     global_buffer
      - .offset:         8
        .size:           1
        .value_kind:     by_value
    .group_segment_fixed_size: 0
    .kernarg_segment_align: 8
    .kernarg_segment_size: 12
    .language:       OpenCL C
    .language_version:
      - 2
      - 0
    .max_flat_workgroup_size: 256
    .name:           _Z9sort_keysILj256ELj3EiN10test_utils4lessEEvPT1_T2_
    .private_segment_fixed_size: 0
    .sgpr_count:     18
    .sgpr_spill_count: 0
    .symbol:         _Z9sort_keysILj256ELj3EiN10test_utils4lessEEvPT1_T2_.kd
    .uniform_work_group_size: 1
    .uses_dynamic_stack: false
    .vgpr_count:     8
    .vgpr_spill_count: 0
    .wavefront_size: 32
    .workgroup_processor_mode: 1
  - .args:
      - .address_space:  global
        .offset:         0
        .size:           8
        .value_kind:     global_buffer
      - .offset:         8
        .size:           1
        .value_kind:     by_value
    .group_segment_fixed_size: 0
    .kernarg_segment_align: 8
    .kernarg_segment_size: 12
    .language:       OpenCL C
    .language_version:
      - 2
      - 0
    .max_flat_workgroup_size: 256
    .name:           _Z9sort_keysILj256ELj2EjN10test_utils4lessEEvPT1_T2_
    .private_segment_fixed_size: 0
    .sgpr_count:     18
    .sgpr_spill_count: 0
    .symbol:         _Z9sort_keysILj256ELj2EjN10test_utils4lessEEvPT1_T2_.kd
    .uniform_work_group_size: 1
    .uses_dynamic_stack: false
    .vgpr_count:     4
    .vgpr_spill_count: 0
    .wavefront_size: 32
    .workgroup_processor_mode: 1
  - .args:
      - .address_space:  global
        .offset:         0
        .size:           8
        .value_kind:     global_buffer
      - .offset:         8
        .size:           1
        .value_kind:     by_value
    .group_segment_fixed_size: 0
    .kernarg_segment_align: 8
    .kernarg_segment_size: 12
    .language:       OpenCL C
    .language_version:
      - 2
      - 0
    .max_flat_workgroup_size: 256
    .name:           _Z9sort_keysILj256ELj1EiN10test_utils4lessEEvPT1_T2_
    .private_segment_fixed_size: 0
    .sgpr_count:     0
    .sgpr_spill_count: 0
    .symbol:         _Z9sort_keysILj256ELj1EiN10test_utils4lessEEvPT1_T2_.kd
    .uniform_work_group_size: 1
    .uses_dynamic_stack: false
    .vgpr_count:     0
    .vgpr_spill_count: 0
    .wavefront_size: 32
    .workgroup_processor_mode: 1
  - .args:
      - .address_space:  global
        .offset:         0
        .size:           8
        .value_kind:     global_buffer
      - .address_space:  global
        .offset:         8
        .size:           8
        .value_kind:     global_buffer
      - .offset:         16
        .size:           1
        .value_kind:     by_value
    .group_segment_fixed_size: 0
    .kernarg_segment_align: 8
    .kernarg_segment_size: 20
    .language:       OpenCL C
    .language_version:
      - 2
      - 0
    .max_flat_workgroup_size: 256
    .name:           _Z16sort_keys_valuesILj256ELj7E12hip_bfloat16iN10test_utils4lessEEvPT1_PT2_T3_
    .private_segment_fixed_size: 0
    .sgpr_count:     18
    .sgpr_spill_count: 0
    .symbol:         _Z16sort_keys_valuesILj256ELj7E12hip_bfloat16iN10test_utils4lessEEvPT1_PT2_T3_.kd
    .uniform_work_group_size: 1
    .uses_dynamic_stack: false
    .vgpr_count:     23
    .vgpr_spill_count: 0
    .wavefront_size: 32
    .workgroup_processor_mode: 1
  - .args:
      - .address_space:  global
        .offset:         0
        .size:           8
        .value_kind:     global_buffer
      - .address_space:  global
        .offset:         8
        .size:           8
        .value_kind:     global_buffer
      - .offset:         16
        .size:           1
        .value_kind:     by_value
    .group_segment_fixed_size: 0
    .kernarg_segment_align: 8
    .kernarg_segment_size: 20
    .language:       OpenCL C
    .language_version:
      - 2
      - 0
    .max_flat_workgroup_size: 256
    .name:           _Z16sort_keys_valuesILj256ELj6E6__halfS0_N10test_utils4lessEEvPT1_PT2_T3_
    .private_segment_fixed_size: 0
    .sgpr_count:     16
    .sgpr_spill_count: 0
    .symbol:         _Z16sort_keys_valuesILj256ELj6E6__halfS0_N10test_utils4lessEEvPT1_PT2_T3_.kd
    .uniform_work_group_size: 1
    .uses_dynamic_stack: false
    .vgpr_count:     20
    .vgpr_spill_count: 0
    .wavefront_size: 32
    .workgroup_processor_mode: 1
  - .args:
      - .address_space:  global
        .offset:         0
        .size:           8
        .value_kind:     global_buffer
      - .address_space:  global
        .offset:         8
        .size:           8
        .value_kind:     global_buffer
      - .offset:         16
        .size:           1
        .value_kind:     by_value
    .group_segment_fixed_size: 0
    .kernarg_segment_align: 8
    .kernarg_segment_size: 20
    .language:       OpenCL C
    .language_version:
      - 2
      - 0
    .max_flat_workgroup_size: 256
    .name:           _Z16sort_keys_valuesILj256ELj7E12hip_bfloat16S0_N10test_utils4lessEEvPT1_PT2_T3_
    .private_segment_fixed_size: 0
    .sgpr_count:     18
    .sgpr_spill_count: 0
    .symbol:         _Z16sort_keys_valuesILj256ELj7E12hip_bfloat16S0_N10test_utils4lessEEvPT1_PT2_T3_.kd
    .uniform_work_group_size: 1
    .uses_dynamic_stack: false
    .vgpr_count:     21
    .vgpr_spill_count: 0
    .wavefront_size: 32
    .workgroup_processor_mode: 1
  - .args:
      - .address_space:  global
        .offset:         0
        .size:           8
        .value_kind:     global_buffer
      - .address_space:  global
        .offset:         8
        .size:           8
        .value_kind:     global_buffer
      - .offset:         16
        .size:           1
        .value_kind:     by_value
    .group_segment_fixed_size: 0
    .kernarg_segment_align: 8
    .kernarg_segment_size: 20
    .language:       OpenCL C
    .language_version:
      - 2
      - 0
    .max_flat_workgroup_size: 256
    .name:           _Z16sort_keys_valuesILj256ELj4EN10test_utils16custom_test_typeIiEENS1_IcEENS0_4lessEEvPT1_PT2_T3_
    .private_segment_fixed_size: 0
    .sgpr_count:     18
    .sgpr_spill_count: 0
    .symbol:         _Z16sort_keys_valuesILj256ELj4EN10test_utils16custom_test_typeIiEENS1_IcEENS0_4lessEEvPT1_PT2_T3_.kd
    .uniform_work_group_size: 1
    .uses_dynamic_stack: false
    .vgpr_count:     29
    .vgpr_spill_count: 0
    .wavefront_size: 32
    .workgroup_processor_mode: 1
  - .args:
      - .address_space:  global
        .offset:         0
        .size:           8
        .value_kind:     global_buffer
      - .address_space:  global
        .offset:         8
        .size:           8
        .value_kind:     global_buffer
      - .offset:         16
        .size:           1
        .value_kind:     by_value
    .group_segment_fixed_size: 0
    .kernarg_segment_align: 8
    .kernarg_segment_size: 20
    .language:       OpenCL C
    .language_version:
      - 2
      - 0
    .max_flat_workgroup_size: 256
    .name:           _Z16sort_keys_valuesILj256ELj11EdxN10test_utils4lessEEvPT1_PT2_T3_
    .private_segment_fixed_size: 2052
    .sgpr_count:     18
    .sgpr_spill_count: 0
    .symbol:         _Z16sort_keys_valuesILj256ELj11EdxN10test_utils4lessEEvPT1_PT2_T3_.kd
    .uniform_work_group_size: 1
    .uses_dynamic_stack: false
    .vgpr_count:     256
    .vgpr_spill_count: 9248
    .wavefront_size: 32
    .workgroup_processor_mode: 1
  - .args:
      - .address_space:  global
        .offset:         0
        .size:           8
        .value_kind:     global_buffer
      - .address_space:  global
        .offset:         8
        .size:           8
        .value_kind:     global_buffer
      - .offset:         16
        .size:           1
        .value_kind:     by_value
    .group_segment_fixed_size: 0
    .kernarg_segment_align: 8
    .kernarg_segment_size: 20
    .language:       OpenCL C
    .language_version:
      - 2
      - 0
    .max_flat_workgroup_size: 256
    .name:           _Z16sort_keys_valuesILj256ELj10EhiN10test_utils4lessEEvPT1_PT2_T3_
    .private_segment_fixed_size: 0
    .sgpr_count:     18
    .sgpr_spill_count: 0
    .symbol:         _Z16sort_keys_valuesILj256ELj10EhiN10test_utils4lessEEvPT1_PT2_T3_.kd
    .uniform_work_group_size: 1
    .uses_dynamic_stack: false
    .vgpr_count:     26
    .vgpr_spill_count: 0
    .wavefront_size: 32
    .workgroup_processor_mode: 1
  - .args:
      - .address_space:  global
        .offset:         0
        .size:           8
        .value_kind:     global_buffer
      - .address_space:  global
        .offset:         8
        .size:           8
        .value_kind:     global_buffer
      - .offset:         16
        .size:           1
        .value_kind:     by_value
    .group_segment_fixed_size: 0
    .kernarg_segment_align: 8
    .kernarg_segment_size: 20
    .language:       OpenCL C
    .language_version:
      - 2
      - 0
    .max_flat_workgroup_size: 256
    .name:           _Z16sort_keys_valuesILj256ELj9EycN10test_utils4lessEEvPT1_PT2_T3_
    .private_segment_fixed_size: 0
    .sgpr_count:     18
    .sgpr_spill_count: 0
    .symbol:         _Z16sort_keys_valuesILj256ELj9EycN10test_utils4lessEEvPT1_PT2_T3_.kd
    .uniform_work_group_size: 1
    .uses_dynamic_stack: false
    .vgpr_count:     34
    .vgpr_spill_count: 0
    .wavefront_size: 32
    .workgroup_processor_mode: 1
  - .args:
      - .address_space:  global
        .offset:         0
        .size:           8
        .value_kind:     global_buffer
      - .address_space:  global
        .offset:         8
        .size:           8
        .value_kind:     global_buffer
      - .offset:         16
        .size:           1
        .value_kind:     by_value
    .group_segment_fixed_size: 0
    .kernarg_segment_align: 8
    .kernarg_segment_size: 20
    .language:       OpenCL C
    .language_version:
      - 2
      - 0
    .max_flat_workgroup_size: 256
    .name:           _Z16sort_keys_valuesILj256ELj8EtcN10test_utils4lessEEvPT1_PT2_T3_
    .private_segment_fixed_size: 0
    .sgpr_count:     18
    .sgpr_spill_count: 0
    .symbol:         _Z16sort_keys_valuesILj256ELj8EtcN10test_utils4lessEEvPT1_PT2_T3_.kd
    .uniform_work_group_size: 1
    .uses_dynamic_stack: false
    .vgpr_count:     14
    .vgpr_spill_count: 0
    .wavefront_size: 32
    .workgroup_processor_mode: 1
  - .args:
      - .address_space:  global
        .offset:         0
        .size:           8
        .value_kind:     global_buffer
      - .address_space:  global
        .offset:         8
        .size:           8
        .value_kind:     global_buffer
      - .offset:         16
        .size:           1
        .value_kind:     by_value
    .group_segment_fixed_size: 0
    .kernarg_segment_align: 8
    .kernarg_segment_size: 20
    .language:       OpenCL C
    .language_version:
      - 2
      - 0
    .max_flat_workgroup_size: 256
    .name:           _Z16sort_keys_valuesILj256ELj7EisN10test_utils4lessEEvPT1_PT2_T3_
    .private_segment_fixed_size: 0
    .sgpr_count:     18
    .sgpr_spill_count: 0
    .symbol:         _Z16sort_keys_valuesILj256ELj7EisN10test_utils4lessEEvPT1_PT2_T3_.kd
    .uniform_work_group_size: 1
    .uses_dynamic_stack: false
    .vgpr_count:     32
    .vgpr_spill_count: 0
    .wavefront_size: 32
    .workgroup_processor_mode: 1
  - .args:
      - .address_space:  global
        .offset:         0
        .size:           8
        .value_kind:     global_buffer
      - .address_space:  global
        .offset:         8
        .size:           8
        .value_kind:     global_buffer
      - .offset:         16
        .size:           1
        .value_kind:     by_value
    .group_segment_fixed_size: 0
    .kernarg_segment_align: 8
    .kernarg_segment_size: 20
    .language:       OpenCL C
    .language_version:
      - 2
      - 0
    .max_flat_workgroup_size: 256
    .name:           _Z16sort_keys_valuesILj256ELj6EfcN10test_utils7greaterEEvPT1_PT2_T3_
    .private_segment_fixed_size: 0
    .sgpr_count:     18
    .sgpr_spill_count: 0
    .symbol:         _Z16sort_keys_valuesILj256ELj6EfcN10test_utils7greaterEEvPT1_PT2_T3_.kd
    .uniform_work_group_size: 1
    .uses_dynamic_stack: false
    .vgpr_count:     17
    .vgpr_spill_count: 0
    .wavefront_size: 32
    .workgroup_processor_mode: 1
  - .args:
      - .address_space:  global
        .offset:         0
        .size:           8
        .value_kind:     global_buffer
      - .address_space:  global
        .offset:         8
        .size:           8
        .value_kind:     global_buffer
      - .offset:         16
        .size:           1
        .value_kind:     by_value
    .group_segment_fixed_size: 0
    .kernarg_segment_align: 8
    .kernarg_segment_size: 20
    .language:       OpenCL C
    .language_version:
      - 2
      - 0
    .max_flat_workgroup_size: 256
    .name:           _Z16sort_keys_valuesILj256ELj5EtcN10test_utils4lessEEvPT1_PT2_T3_
    .private_segment_fixed_size: 0
    .sgpr_count:     18
    .sgpr_spill_count: 0
    .symbol:         _Z16sort_keys_valuesILj256ELj5EtcN10test_utils4lessEEvPT1_PT2_T3_.kd
    .uniform_work_group_size: 1
    .uses_dynamic_stack: false
    .vgpr_count:     13
    .vgpr_spill_count: 0
    .wavefront_size: 32
    .workgroup_processor_mode: 1
  - .args:
      - .address_space:  global
        .offset:         0
        .size:           8
        .value_kind:     global_buffer
      - .address_space:  global
        .offset:         8
        .size:           8
        .value_kind:     global_buffer
      - .offset:         16
        .size:           1
        .value_kind:     by_value
    .group_segment_fixed_size: 0
    .kernarg_segment_align: 8
    .kernarg_segment_size: 20
    .language:       OpenCL C
    .language_version:
      - 2
      - 0
    .max_flat_workgroup_size: 256
    .name:           _Z16sort_keys_valuesILj256ELj4EjiN10test_utils4lessEEvPT1_PT2_T3_
    .private_segment_fixed_size: 0
    .sgpr_count:     18
    .sgpr_spill_count: 0
    .symbol:         _Z16sort_keys_valuesILj256ELj4EjiN10test_utils4lessEEvPT1_PT2_T3_.kd
    .uniform_work_group_size: 1
    .uses_dynamic_stack: false
    .vgpr_count:     14
    .vgpr_spill_count: 0
    .wavefront_size: 32
    .workgroup_processor_mode: 1
  - .args:
      - .address_space:  global
        .offset:         0
        .size:           8
        .value_kind:     global_buffer
      - .address_space:  global
        .offset:         8
        .size:           8
        .value_kind:     global_buffer
      - .offset:         16
        .size:           1
        .value_kind:     by_value
    .group_segment_fixed_size: 0
    .kernarg_segment_align: 8
    .kernarg_segment_size: 20
    .language:       OpenCL C
    .language_version:
      - 2
      - 0
    .max_flat_workgroup_size: 256
    .name:           _Z16sort_keys_valuesILj256ELj3EiiN10test_utils4lessEEvPT1_PT2_T3_
    .private_segment_fixed_size: 0
    .sgpr_count:     18
    .sgpr_spill_count: 0
    .symbol:         _Z16sort_keys_valuesILj256ELj3EiiN10test_utils4lessEEvPT1_PT2_T3_.kd
    .uniform_work_group_size: 1
    .uses_dynamic_stack: false
    .vgpr_count:     11
    .vgpr_spill_count: 0
    .wavefront_size: 32
    .workgroup_processor_mode: 1
  - .args:
      - .address_space:  global
        .offset:         0
        .size:           8
        .value_kind:     global_buffer
      - .address_space:  global
        .offset:         8
        .size:           8
        .value_kind:     global_buffer
      - .offset:         16
        .size:           1
        .value_kind:     by_value
    .group_segment_fixed_size: 0
    .kernarg_segment_align: 8
    .kernarg_segment_size: 20
    .language:       OpenCL C
    .language_version:
      - 2
      - 0
    .max_flat_workgroup_size: 256
    .name:           _Z16sort_keys_valuesILj256ELj2EjiN10test_utils4lessEEvPT1_PT2_T3_
    .private_segment_fixed_size: 0
    .sgpr_count:     18
    .sgpr_spill_count: 0
    .symbol:         _Z16sort_keys_valuesILj256ELj2EjiN10test_utils4lessEEvPT1_PT2_T3_.kd
    .uniform_work_group_size: 1
    .uses_dynamic_stack: false
    .vgpr_count:     8
    .vgpr_spill_count: 0
    .wavefront_size: 32
    .workgroup_processor_mode: 1
  - .args:
      - .address_space:  global
        .offset:         0
        .size:           8
        .value_kind:     global_buffer
      - .address_space:  global
        .offset:         8
        .size:           8
        .value_kind:     global_buffer
      - .offset:         16
        .size:           1
        .value_kind:     by_value
    .group_segment_fixed_size: 0
    .kernarg_segment_align: 8
    .kernarg_segment_size: 20
    .language:       OpenCL C
    .language_version:
      - 2
      - 0
    .max_flat_workgroup_size: 256
    .name:           _Z16sort_keys_valuesILj256ELj1EiiN10test_utils4lessEEvPT1_PT2_T3_
    .private_segment_fixed_size: 0
    .sgpr_count:     0
    .sgpr_spill_count: 0
    .symbol:         _Z16sort_keys_valuesILj256ELj1EiiN10test_utils4lessEEvPT1_PT2_T3_.kd
    .uniform_work_group_size: 1
    .uses_dynamic_stack: false
    .vgpr_count:     0
    .vgpr_spill_count: 0
    .wavefront_size: 32
    .workgroup_processor_mode: 1
amdhsa.target:   amdgcn-amd-amdhsa--gfx1100
amdhsa.version:
  - 1
  - 2
...

	.end_amdgpu_metadata
